;; amdgpu-corpus repo=ROCm/rocFFT kind=compiled arch=gfx906 opt=O3
	.text
	.amdgcn_target "amdgcn-amd-amdhsa--gfx906"
	.amdhsa_code_object_version 6
	.protected	fft_rtc_fwd_len1156_factors_17_2_17_2_wgs_204_tpt_68_halfLds_half_ip_CI_unitstride_sbrr_R2C_dirReg ; -- Begin function fft_rtc_fwd_len1156_factors_17_2_17_2_wgs_204_tpt_68_halfLds_half_ip_CI_unitstride_sbrr_R2C_dirReg
	.globl	fft_rtc_fwd_len1156_factors_17_2_17_2_wgs_204_tpt_68_halfLds_half_ip_CI_unitstride_sbrr_R2C_dirReg
	.p2align	8
	.type	fft_rtc_fwd_len1156_factors_17_2_17_2_wgs_204_tpt_68_halfLds_half_ip_CI_unitstride_sbrr_R2C_dirReg,@function
fft_rtc_fwd_len1156_factors_17_2_17_2_wgs_204_tpt_68_halfLds_half_ip_CI_unitstride_sbrr_R2C_dirReg: ; @fft_rtc_fwd_len1156_factors_17_2_17_2_wgs_204_tpt_68_halfLds_half_ip_CI_unitstride_sbrr_R2C_dirReg
; %bb.0:
	s_load_dwordx2 s[12:13], s[4:5], 0x50
	s_load_dwordx4 s[8:11], s[4:5], 0x0
	s_load_dwordx2 s[2:3], s[4:5], 0x18
	v_mul_u32_u24_e32 v1, 0x3c4, v0
	v_lshrrev_b32_e32 v1, 16, v1
	v_mad_u64_u32 v[1:2], s[0:1], s6, 3, v[1:2]
	v_mov_b32_e32 v5, 0
	s_waitcnt lgkmcnt(0)
	v_cmp_lt_u64_e64 s[0:1], s[10:11], 2
	v_mov_b32_e32 v2, v5
	v_mov_b32_e32 v3, 0
	;; [unrolled: 1-line block ×3, first 2 shown]
	s_and_b64 vcc, exec, s[0:1]
	v_mov_b32_e32 v4, 0
	v_mov_b32_e32 v9, v1
	s_cbranch_vccnz .LBB0_8
; %bb.1:
	s_load_dwordx2 s[0:1], s[4:5], 0x10
	s_add_u32 s6, s2, 8
	s_addc_u32 s7, s3, 0
	v_mov_b32_e32 v3, 0
	v_mov_b32_e32 v8, v2
	s_waitcnt lgkmcnt(0)
	s_add_u32 s16, s0, 8
	s_mov_b64 s[14:15], 1
	v_mov_b32_e32 v4, 0
	s_addc_u32 s17, s1, 0
	v_mov_b32_e32 v7, v1
.LBB0_2:                                ; =>This Inner Loop Header: Depth=1
	s_load_dwordx2 s[18:19], s[16:17], 0x0
                                        ; implicit-def: $vgpr9_vgpr10
	s_waitcnt lgkmcnt(0)
	v_or_b32_e32 v6, s19, v8
	v_cmp_ne_u64_e32 vcc, 0, v[5:6]
	s_and_saveexec_b64 s[0:1], vcc
	s_xor_b64 s[20:21], exec, s[0:1]
	s_cbranch_execz .LBB0_4
; %bb.3:                                ;   in Loop: Header=BB0_2 Depth=1
	v_cvt_f32_u32_e32 v2, s18
	v_cvt_f32_u32_e32 v6, s19
	s_sub_u32 s0, 0, s18
	s_subb_u32 s1, 0, s19
	v_mac_f32_e32 v2, 0x4f800000, v6
	v_rcp_f32_e32 v2, v2
	v_mul_f32_e32 v2, 0x5f7ffffc, v2
	v_mul_f32_e32 v6, 0x2f800000, v2
	v_trunc_f32_e32 v6, v6
	v_mac_f32_e32 v2, 0xcf800000, v6
	v_cvt_u32_f32_e32 v6, v6
	v_cvt_u32_f32_e32 v2, v2
	v_mul_lo_u32 v9, s0, v6
	v_mul_hi_u32 v10, s0, v2
	v_mul_lo_u32 v12, s1, v2
	v_mul_lo_u32 v11, s0, v2
	v_add_u32_e32 v9, v10, v9
	v_add_u32_e32 v9, v9, v12
	v_mul_hi_u32 v10, v2, v11
	v_mul_lo_u32 v12, v2, v9
	v_mul_hi_u32 v14, v2, v9
	v_mul_hi_u32 v13, v6, v11
	v_mul_lo_u32 v11, v6, v11
	v_mul_hi_u32 v15, v6, v9
	v_add_co_u32_e32 v10, vcc, v10, v12
	v_addc_co_u32_e32 v12, vcc, 0, v14, vcc
	v_mul_lo_u32 v9, v6, v9
	v_add_co_u32_e32 v10, vcc, v10, v11
	v_addc_co_u32_e32 v10, vcc, v12, v13, vcc
	v_addc_co_u32_e32 v11, vcc, 0, v15, vcc
	v_add_co_u32_e32 v9, vcc, v10, v9
	v_addc_co_u32_e32 v10, vcc, 0, v11, vcc
	v_add_co_u32_e32 v2, vcc, v2, v9
	v_addc_co_u32_e32 v6, vcc, v6, v10, vcc
	v_mul_lo_u32 v9, s0, v6
	v_mul_hi_u32 v10, s0, v2
	v_mul_lo_u32 v11, s1, v2
	v_mul_lo_u32 v12, s0, v2
	v_add_u32_e32 v9, v10, v9
	v_add_u32_e32 v9, v9, v11
	v_mul_lo_u32 v13, v2, v9
	v_mul_hi_u32 v14, v2, v12
	v_mul_hi_u32 v15, v2, v9
	;; [unrolled: 1-line block ×3, first 2 shown]
	v_mul_lo_u32 v12, v6, v12
	v_mul_hi_u32 v10, v6, v9
	v_add_co_u32_e32 v13, vcc, v14, v13
	v_addc_co_u32_e32 v14, vcc, 0, v15, vcc
	v_mul_lo_u32 v9, v6, v9
	v_add_co_u32_e32 v12, vcc, v13, v12
	v_addc_co_u32_e32 v11, vcc, v14, v11, vcc
	v_addc_co_u32_e32 v10, vcc, 0, v10, vcc
	v_add_co_u32_e32 v9, vcc, v11, v9
	v_addc_co_u32_e32 v10, vcc, 0, v10, vcc
	v_add_co_u32_e32 v2, vcc, v2, v9
	v_addc_co_u32_e32 v6, vcc, v6, v10, vcc
	v_mad_u64_u32 v[9:10], s[0:1], v7, v6, 0
	v_mul_hi_u32 v11, v7, v2
	v_add_co_u32_e32 v13, vcc, v11, v9
	v_addc_co_u32_e32 v14, vcc, 0, v10, vcc
	v_mad_u64_u32 v[9:10], s[0:1], v8, v2, 0
	v_mad_u64_u32 v[11:12], s[0:1], v8, v6, 0
	v_add_co_u32_e32 v2, vcc, v13, v9
	v_addc_co_u32_e32 v2, vcc, v14, v10, vcc
	v_addc_co_u32_e32 v6, vcc, 0, v12, vcc
	v_add_co_u32_e32 v2, vcc, v2, v11
	v_addc_co_u32_e32 v6, vcc, 0, v6, vcc
	v_mul_lo_u32 v11, s19, v2
	v_mul_lo_u32 v12, s18, v6
	v_mad_u64_u32 v[9:10], s[0:1], s18, v2, 0
	v_add3_u32 v10, v10, v12, v11
	v_sub_u32_e32 v11, v8, v10
	v_mov_b32_e32 v12, s19
	v_sub_co_u32_e32 v9, vcc, v7, v9
	v_subb_co_u32_e64 v11, s[0:1], v11, v12, vcc
	v_subrev_co_u32_e64 v12, s[0:1], s18, v9
	v_subbrev_co_u32_e64 v11, s[0:1], 0, v11, s[0:1]
	v_cmp_le_u32_e64 s[0:1], s19, v11
	v_cndmask_b32_e64 v13, 0, -1, s[0:1]
	v_cmp_le_u32_e64 s[0:1], s18, v12
	v_cndmask_b32_e64 v12, 0, -1, s[0:1]
	v_cmp_eq_u32_e64 s[0:1], s19, v11
	v_cndmask_b32_e64 v11, v13, v12, s[0:1]
	v_add_co_u32_e64 v12, s[0:1], 2, v2
	v_addc_co_u32_e64 v13, s[0:1], 0, v6, s[0:1]
	v_add_co_u32_e64 v14, s[0:1], 1, v2
	v_addc_co_u32_e64 v15, s[0:1], 0, v6, s[0:1]
	v_subb_co_u32_e32 v10, vcc, v8, v10, vcc
	v_cmp_ne_u32_e64 s[0:1], 0, v11
	v_cmp_le_u32_e32 vcc, s19, v10
	v_cndmask_b32_e64 v11, v15, v13, s[0:1]
	v_cndmask_b32_e64 v13, 0, -1, vcc
	v_cmp_le_u32_e32 vcc, s18, v9
	v_cndmask_b32_e64 v9, 0, -1, vcc
	v_cmp_eq_u32_e32 vcc, s19, v10
	v_cndmask_b32_e32 v9, v13, v9, vcc
	v_cmp_ne_u32_e32 vcc, 0, v9
	v_cndmask_b32_e32 v10, v6, v11, vcc
	v_cndmask_b32_e64 v6, v14, v12, s[0:1]
	v_cndmask_b32_e32 v9, v2, v6, vcc
.LBB0_4:                                ;   in Loop: Header=BB0_2 Depth=1
	s_andn2_saveexec_b64 s[0:1], s[20:21]
	s_cbranch_execz .LBB0_6
; %bb.5:                                ;   in Loop: Header=BB0_2 Depth=1
	v_cvt_f32_u32_e32 v2, s18
	s_sub_i32 s20, 0, s18
	v_rcp_iflag_f32_e32 v2, v2
	v_mul_f32_e32 v2, 0x4f7ffffe, v2
	v_cvt_u32_f32_e32 v2, v2
	v_mul_lo_u32 v6, s20, v2
	v_mul_hi_u32 v6, v2, v6
	v_add_u32_e32 v2, v2, v6
	v_mul_hi_u32 v2, v7, v2
	v_mul_lo_u32 v6, v2, s18
	v_add_u32_e32 v9, 1, v2
	v_sub_u32_e32 v6, v7, v6
	v_subrev_u32_e32 v10, s18, v6
	v_cmp_le_u32_e32 vcc, s18, v6
	v_cndmask_b32_e32 v6, v6, v10, vcc
	v_cndmask_b32_e32 v2, v2, v9, vcc
	v_add_u32_e32 v9, 1, v2
	v_cmp_le_u32_e32 vcc, s18, v6
	v_cndmask_b32_e32 v9, v2, v9, vcc
	v_mov_b32_e32 v10, v5
.LBB0_6:                                ;   in Loop: Header=BB0_2 Depth=1
	s_or_b64 exec, exec, s[0:1]
	v_mul_lo_u32 v2, v10, s18
	v_mul_lo_u32 v6, v9, s19
	v_mad_u64_u32 v[11:12], s[0:1], v9, s18, 0
	s_load_dwordx2 s[0:1], s[6:7], 0x0
	s_add_u32 s14, s14, 1
	v_add3_u32 v2, v12, v6, v2
	v_sub_co_u32_e32 v6, vcc, v7, v11
	v_subb_co_u32_e32 v2, vcc, v8, v2, vcc
	s_waitcnt lgkmcnt(0)
	v_mul_lo_u32 v2, s0, v2
	v_mul_lo_u32 v7, s1, v6
	v_mad_u64_u32 v[3:4], s[0:1], s0, v6, v[3:4]
	s_addc_u32 s15, s15, 0
	s_add_u32 s6, s6, 8
	v_add3_u32 v4, v7, v4, v2
	v_mov_b32_e32 v6, s10
	v_mov_b32_e32 v7, s11
	s_addc_u32 s7, s7, 0
	v_cmp_ge_u64_e32 vcc, s[14:15], v[6:7]
	s_add_u32 s16, s16, 8
	s_addc_u32 s17, s17, 0
	s_cbranch_vccnz .LBB0_8
; %bb.7:                                ;   in Loop: Header=BB0_2 Depth=1
	v_mov_b32_e32 v7, v9
	v_mov_b32_e32 v8, v10
	s_branch .LBB0_2
.LBB0_8:
	s_lshl_b64 s[0:1], s[10:11], 3
	s_add_u32 s0, s2, s0
	s_addc_u32 s1, s3, s1
	s_load_dwordx2 s[0:1], s[0:1], 0x0
	s_mov_b32 s2, 0xaaaaaaab
	v_mul_hi_u32 v5, v1, s2
	s_load_dwordx2 s[2:3], s[4:5], 0x20
                                        ; implicit-def: $vgpr11
                                        ; implicit-def: $vgpr8
	s_waitcnt lgkmcnt(0)
	v_mul_lo_u32 v6, s0, v10
	v_mul_lo_u32 v7, s1, v9
	v_mad_u64_u32 v[2:3], s[0:1], s0, v9, v[3:4]
	s_mov_b32 s0, 0x3c3c3c4
	v_lshrrev_b32_e32 v4, 1, v5
	v_mul_hi_u32 v5, v0, s0
	v_lshl_add_u32 v4, v4, 1, v4
	v_sub_u32_e32 v1, v1, v4
	v_cmp_gt_u64_e64 s[0:1], s[2:3], v[9:10]
	v_cmp_le_u64_e32 vcc, s[2:3], v[9:10]
	v_mul_u32_u24_e32 v4, 0x44, v5
	v_add3_u32 v3, v7, v3, v6
	v_sub_u32_e32 v0, v0, v4
                                        ; implicit-def: $vgpr10
                                        ; implicit-def: $vgpr9
                                        ; implicit-def: $vgpr7
                                        ; implicit-def: $vgpr6
                                        ; implicit-def: $vgpr5
                                        ; implicit-def: $vgpr4
	s_and_saveexec_b64 s[2:3], vcc
	s_xor_b64 s[2:3], exec, s[2:3]
; %bb.9:
	v_add_u32_e32 v11, 0x44, v0
	v_add_u32_e32 v10, 0x88, v0
	;; [unrolled: 1-line block ×8, first 2 shown]
; %bb.10:
	s_or_saveexec_b64 s[2:3], s[2:3]
	v_mul_u32_u24_e32 v1, 0x485, v1
	v_lshlrev_b64 v[2:3], 2, v[2:3]
	v_lshlrev_b32_e32 v20, 2, v1
	v_lshlrev_b32_e32 v34, 2, v0
	s_xor_b64 exec, exec, s[2:3]
	s_cbranch_execz .LBB0_12
; %bb.11:
	v_mov_b32_e32 v1, 0
	v_mov_b32_e32 v4, s13
	v_add_co_u32_e32 v6, vcc, s12, v2
	v_addc_co_u32_e32 v7, vcc, v4, v3, vcc
	v_lshlrev_b64 v[4:5], 2, v[0:1]
	v_add_u32_e32 v11, 0x44, v0
	v_add_co_u32_e32 v4, vcc, v6, v4
	v_addc_co_u32_e32 v5, vcc, v7, v5, vcc
	v_add_co_u32_e32 v6, vcc, 0x1000, v4
	global_load_dword v1, v[4:5], off offset:1088
	global_load_dword v12, v[4:5], off offset:1360
	;; [unrolled: 1-line block ×12, first 2 shown]
	v_addc_co_u32_e32 v7, vcc, 0, v5, vcc
	global_load_dword v24, v[4:5], off
	global_load_dword v25, v[4:5], off offset:272
	global_load_dword v26, v[4:5], off offset:544
	;; [unrolled: 1-line block ×4, first 2 shown]
	v_add3_u32 v4, 0, v20, v34
	v_add_u32_e32 v29, 0x400, v4
	v_add_u32_e32 v10, 0x88, v0
	;; [unrolled: 1-line block ×9, first 2 shown]
	s_waitcnt vmcnt(15)
	ds_write2_b32 v29, v1, v12 offset0:16 offset1:84
	s_waitcnt vmcnt(13)
	ds_write2_b32 v29, v13, v14 offset0:152 offset1:220
	;; [unrolled: 2-line block ×6, first 2 shown]
	s_waitcnt vmcnt(3)
	ds_write2_b32 v4, v24, v25 offset1:68
	s_waitcnt vmcnt(1)
	ds_write2_b32 v4, v26, v27 offset0:136 offset1:204
	s_waitcnt vmcnt(0)
	ds_write_b32 v4, v28 offset:4352
	v_add_u32_e32 v4, 0x220, v0
.LBB0_12:
	s_or_b64 exec, exec, s[2:3]
	v_add3_u32 v35, 0, v34, v20
	v_add_u32_e32 v1, 0x600, v35
	s_waitcnt lgkmcnt(0)
	s_barrier
	v_add_u32_e32 v33, 0, v20
	ds_read2_b32 v[12:13], v1 offset0:92 offset1:160
	v_add_u32_e32 v17, 0x800, v35
	v_add_u32_e32 v16, 0xa00, v35
	;; [unrolled: 1-line block ×5, first 2 shown]
	ds_read2_b32 v[26:27], v35 offset0:68 offset1:136
	ds_read2_b32 v[14:15], v17 offset0:100 offset1:168
	;; [unrolled: 1-line block ×5, first 2 shown]
	ds_read_b32 v21, v32
	v_add_u32_e32 v22, 0x200, v35
	ds_read2_b32 v[43:44], v22 offset0:76 offset1:144
	v_add_u32_e32 v22, 0x400, v35
	ds_read2_b32 v[46:47], v22 offset0:84 offset1:152
	s_waitcnt lgkmcnt(2)
	v_pk_add_f16 v22, v21, v26
	v_pk_add_f16 v22, v22, v27
	s_waitcnt lgkmcnt(1)
	v_pk_add_f16 v22, v22, v43
	v_pk_add_f16 v22, v22, v44
	s_waitcnt lgkmcnt(0)
	v_pk_add_f16 v22, v22, v46
	v_pk_add_f16 v22, v22, v47
	v_pk_add_f16 v22, v22, v12
	v_pk_add_f16 v22, v22, v13
	;; [unrolled: 1-line block ×9, first 2 shown]
	s_movk_i32 s2, 0x44
	v_pk_add_f16 v23, v22, v40
	v_pk_add_f16 v22, v26, v40 neg_lo:[0,1] neg_hi:[0,1]
	s_mov_b32 s23, 0xb5c8
	v_mad_u32_u24 v19, v0, s2, v33
	v_pk_add_f16 v24, v40, v26
	v_mul_f16_sdwa v25, v22, s23 dst_sel:DWORD dst_unused:UNUSED_PAD src0_sel:WORD_1 src1_sel:DWORD
	s_movk_i32 s2, 0x3b76
	v_fma_f16 v26, v24, s2, -v25
	v_fma_f16 v25, v24, s2, v25
	s_mov_b32 s3, 0x3b7639e9
	v_add_f16_e32 v31, v21, v25
	v_pk_mul_f16 v25, v24, s3
	s_mov_b32 s3, 0xb964b5c8
	v_pk_fma_f16 v41, v22, s3, v25 op_sel:[0,0,1] op_sel_hi:[1,1,0] neg_lo:[1,0,0] neg_hi:[1,0,0]
	v_pk_fma_f16 v25, v22, s3, v25 op_sel:[0,0,1] op_sel_hi:[1,1,0]
	s_mov_b32 s4, 0xffff
	v_add_f16_e32 v28, v21, v26
	v_bfi_b32 v26, s4, v25, v41
	v_pk_add_f16 v36, v21, v26 op_sel:[1,0] op_sel_hi:[0,1]
	v_lshrrev_b32_e32 v26, 16, v24
	v_mul_f16_e32 v40, 0xb964, v22
	s_movk_i32 s5, 0x39e9
	v_pk_add_f16 v48, v21, v25 op_sel:[1,0] op_sel_hi:[0,1]
	v_fma_f16 v25, v26, s5, -v40
	s_mov_b32 s22, 0xbb29
	v_fma_f16 v42, v26, s5, v40
	v_add_f16_sdwa v40, v21, v25 dst_sel:DWORD dst_unused:UNUSED_PAD src0_sel:WORD_1 src1_sel:DWORD
	v_mul_f16_sdwa v25, v22, s22 dst_sel:DWORD dst_unused:UNUSED_PAD src0_sel:WORD_1 src1_sel:DWORD
	s_movk_i32 s3, 0x3722
	v_add_f16_sdwa v45, v21, v42 dst_sel:DWORD dst_unused:UNUSED_PAD src0_sel:WORD_1 src1_sel:DWORD
	v_fma_f16 v42, v24, s3, -v25
	v_add_f16_e32 v49, v21, v42
	v_mul_f16_e32 v42, 0xbb29, v22
	v_fma_f16 v25, v24, s3, v25
	v_add_f16_e32 v51, v21, v25
	v_fma_f16 v25, v26, s3, -v42
	s_mov_b32 s24, 0xbbf7
	v_add_f16_sdwa v52, v21, v25 dst_sel:DWORD dst_unused:UNUSED_PAD src0_sel:WORD_1 src1_sel:DWORD
	v_mul_f16_sdwa v25, v22, s24 dst_sel:DWORD dst_unused:UNUSED_PAD src0_sel:WORD_1 src1_sel:DWORD
	s_movk_i32 s6, 0x2de8
	v_fma_f16 v50, v26, s3, v42
	v_fma_f16 v42, v24, s6, -v25
	v_add_f16_e32 v53, v21, v42
	v_mul_f16_e32 v42, 0xbbf7, v22
	v_fma_f16 v25, v24, s6, v25
	v_add_f16_e32 v55, v21, v25
	v_fma_f16 v25, v26, s6, -v42
	s_mov_b32 s7, 0xbbb2
	v_add_f16_sdwa v56, v21, v25 dst_sel:DWORD dst_unused:UNUSED_PAD src0_sel:WORD_1 src1_sel:DWORD
	v_mul_f16_sdwa v25, v22, s7 dst_sel:DWORD dst_unused:UNUSED_PAD src0_sel:WORD_1 src1_sel:DWORD
	s_mov_b32 s10, 0xb461
	v_fma_f16 v54, v26, s6, v42
	v_fma_f16 v42, v24, s10, -v25
	v_add_f16_e32 v57, v21, v42
	v_mul_f16_e32 v42, 0xbbb2, v22
	v_fma_f16 v25, v24, s10, v25
	v_add_f16_e32 v59, v21, v25
	v_fma_f16 v25, v26, s10, -v42
	s_mov_b32 s11, 0xba62
	v_add_f16_sdwa v60, v21, v25 dst_sel:DWORD dst_unused:UNUSED_PAD src0_sel:WORD_1 src1_sel:DWORD
	v_mul_f16_sdwa v25, v22, s11 dst_sel:DWORD dst_unused:UNUSED_PAD src0_sel:WORD_1 src1_sel:DWORD
	s_mov_b32 s14, 0xb8d2
	v_fma_f16 v58, v26, s10, v42
	v_fma_f16 v42, v24, s14, -v25
	v_add_f16_e32 v61, v21, v42
	v_mul_f16_e32 v42, 0xba62, v22
	v_fma_f16 v25, v24, s14, v25
	v_add_f16_e32 v63, v21, v25
	v_fma_f16 v25, v26, s14, -v42
	s_mov_b32 s15, 0xb836
	v_add_f16_sdwa v64, v21, v25 dst_sel:DWORD dst_unused:UNUSED_PAD src0_sel:WORD_1 src1_sel:DWORD
	v_mul_f16_sdwa v25, v22, s15 dst_sel:DWORD dst_unused:UNUSED_PAD src0_sel:WORD_1 src1_sel:DWORD
	s_mov_b32 s16, 0xbacd
	v_fma_f16 v62, v26, s14, v42
	v_fma_f16 v42, v24, s16, -v25
	v_add_f16_e32 v65, v21, v42
	v_mul_f16_e32 v42, 0xb836, v22
	v_fma_f16 v25, v24, s16, v25
	v_add_f16_e32 v67, v21, v25
	v_fma_f16 v25, v26, s16, -v42
	s_mov_b32 s26, 0xb964
	v_add_f16_sdwa v68, v21, v25 dst_sel:DWORD dst_unused:UNUSED_PAD src0_sel:WORD_1 src1_sel:DWORD
	v_pk_add_f16 v25, v27, v39 neg_lo:[0,1] neg_hi:[0,1]
	v_fma_f16 v66, v26, s16, v42
	v_pk_add_f16 v26, v39, v27
	v_mul_f16_sdwa v27, v25, s26 dst_sel:DWORD dst_unused:UNUSED_PAD src0_sel:WORD_1 src1_sel:DWORD
	v_fma_f16 v39, v26, s5, -v27
	v_fma_f16 v27, v26, s5, v27
	s_mov_b32 s17, 0x39e92de8
	v_add_f16_e32 v31, v27, v31
	v_pk_mul_f16 v27, v26, s17
	s_mov_b32 s17, 0xbbf7b964
	v_pk_fma_f16 v42, v25, s17, v27 op_sel:[0,0,1] op_sel_hi:[1,1,0] neg_lo:[1,0,0] neg_hi:[1,0,0]
	v_pk_fma_f16 v27, v25, s17, v27 op_sel:[0,0,1] op_sel_hi:[1,1,0]
	v_add_f16_e32 v39, v39, v28
	v_bfi_b32 v28, s4, v27, v42
	v_pk_add_f16 v36, v28, v36
	v_lshrrev_b32_e32 v28, 16, v26
	v_mul_f16_e32 v69, 0xbbf7, v25
	v_pk_add_f16 v48, v27, v48
	v_fma_f16 v27, v28, s6, -v69
	v_add_f16_e32 v40, v27, v40
	v_mul_f16_sdwa v27, v25, s11 dst_sel:DWORD dst_unused:UNUSED_PAD src0_sel:WORD_1 src1_sel:DWORD
	v_fma_f16 v70, v28, s6, v69
	v_fma_f16 v69, v26, s14, -v27
	v_add_f16_e32 v49, v69, v49
	v_mul_f16_e32 v69, 0xba62, v25
	v_fma_f16 v27, v26, s14, v27
	v_add_f16_e32 v51, v27, v51
	v_fma_f16 v27, v28, s14, -v69
	s_mov_b32 s17, 0xb1e1
	v_add_f16_e32 v52, v27, v52
	v_mul_f16_sdwa v27, v25, s17 dst_sel:DWORD dst_unused:UNUSED_PAD src0_sel:WORD_1 src1_sel:DWORD
	s_mov_b32 s18, 0xbbdd
	v_add_f16_e32 v45, v70, v45
	v_fma_f16 v70, v28, s14, v69
	v_fma_f16 v69, v26, s18, -v27
	v_add_f16_e32 v53, v69, v53
	v_mul_f16_e32 v69, 0xb1e1, v25
	v_fma_f16 v27, v26, s18, v27
	v_add_f16_e32 v55, v27, v55
	v_fma_f16 v27, v28, s18, -v69
	s_movk_i32 s19, 0x3836
	v_add_f16_sdwa v50, v21, v50 dst_sel:DWORD dst_unused:UNUSED_PAD src0_sel:WORD_1 src1_sel:DWORD
	v_add_f16_e32 v56, v27, v56
	v_mul_f16_sdwa v27, v25, s19 dst_sel:DWORD dst_unused:UNUSED_PAD src0_sel:WORD_1 src1_sel:DWORD
	v_add_f16_e32 v50, v70, v50
	v_fma_f16 v70, v28, s18, v69
	v_fma_f16 v69, v26, s16, -v27
	v_add_f16_e32 v57, v69, v57
	v_mul_f16_e32 v69, 0x3836, v25
	v_fma_f16 v27, v26, s16, v27
	v_add_f16_e32 v59, v27, v59
	v_fma_f16 v27, v28, s16, -v69
	s_movk_i32 s21, 0x3bb2
	v_add_f16_sdwa v54, v21, v54 dst_sel:DWORD dst_unused:UNUSED_PAD src0_sel:WORD_1 src1_sel:DWORD
	v_add_f16_e32 v60, v27, v60
	v_mul_f16_sdwa v27, v25, s21 dst_sel:DWORD dst_unused:UNUSED_PAD src0_sel:WORD_1 src1_sel:DWORD
	v_add_f16_e32 v54, v70, v54
	v_fma_f16 v70, v28, s16, v69
	v_fma_f16 v69, v26, s10, -v27
	v_add_f16_e32 v61, v69, v61
	v_mul_f16_e32 v69, 0x3bb2, v25
	v_fma_f16 v27, v26, s10, v27
	v_add_f16_e32 v63, v27, v63
	v_fma_f16 v27, v28, s10, -v69
	s_movk_i32 s19, 0x3b29
	v_add_f16_sdwa v58, v21, v58 dst_sel:DWORD dst_unused:UNUSED_PAD src0_sel:WORD_1 src1_sel:DWORD
	v_add_f16_e32 v64, v27, v64
	v_mul_f16_sdwa v27, v25, s19 dst_sel:DWORD dst_unused:UNUSED_PAD src0_sel:WORD_1 src1_sel:DWORD
	v_add_f16_e32 v58, v70, v58
	v_fma_f16 v70, v28, s10, v69
	v_fma_f16 v69, v26, s3, -v27
	v_add_f16_e32 v65, v69, v65
	v_mul_f16_e32 v69, 0x3b29, v25
	v_fma_f16 v27, v26, s3, v27
	v_add_f16_e32 v67, v27, v67
	v_fma_f16 v27, v28, s3, -v69
	v_add_f16_sdwa v62, v21, v62 dst_sel:DWORD dst_unused:UNUSED_PAD src0_sel:WORD_1 src1_sel:DWORD
	v_add_f16_e32 v68, v27, v68
	v_pk_add_f16 v27, v43, v38 neg_lo:[0,1] neg_hi:[0,1]
	v_add_f16_e32 v62, v70, v62
	v_fma_f16 v70, v28, s3, v69
	v_pk_add_f16 v28, v38, v43
	v_mul_f16_sdwa v38, v27, s22 dst_sel:DWORD dst_unused:UNUSED_PAD src0_sel:WORD_1 src1_sel:DWORD
	v_fma_f16 v43, v28, s3, -v38
	v_fma_f16 v38, v28, s3, v38
	s_mov_b32 s20, 0x3722b8d2
	v_add_f16_e32 v38, v38, v31
	v_pk_mul_f16 v31, v28, s20
	s_mov_b32 s20, 0xba62bb29
	v_add_f16_e32 v39, v43, v39
	v_pk_fma_f16 v43, v27, s20, v31 op_sel:[0,0,1] op_sel_hi:[1,1,0] neg_lo:[1,0,0] neg_hi:[1,0,0]
	v_pk_fma_f16 v31, v27, s20, v31 op_sel:[0,0,1] op_sel_hi:[1,1,0]
	v_add_f16_sdwa v66, v21, v66 dst_sel:DWORD dst_unused:UNUSED_PAD src0_sel:WORD_1 src1_sel:DWORD
	v_bfi_b32 v69, s4, v31, v43
	v_add_f16_e32 v66, v70, v66
	v_pk_add_f16 v69, v69, v36
	v_lshrrev_b32_e32 v36, 16, v28
	v_mul_f16_e32 v70, 0xba62, v27
	v_pk_add_f16 v48, v31, v48
	v_fma_f16 v31, v36, s14, -v70
	s_movk_i32 s20, 0x31e1
	v_add_f16_e32 v40, v31, v40
	v_mul_f16_sdwa v31, v27, s20 dst_sel:DWORD dst_unused:UNUSED_PAD src0_sel:WORD_1 src1_sel:DWORD
	v_fma_f16 v71, v36, s14, v70
	v_fma_f16 v70, v28, s18, -v31
	v_add_f16_e32 v49, v70, v49
	v_mul_f16_e32 v70, 0x31e1, v27
	v_fma_f16 v31, v28, s18, v31
	v_add_f16_e32 v51, v31, v51
	v_fma_f16 v31, v36, s18, -v70
	v_add_f16_e32 v52, v31, v52
	v_mul_f16_sdwa v31, v27, s21 dst_sel:DWORD dst_unused:UNUSED_PAD src0_sel:WORD_1 src1_sel:DWORD
	v_add_f16_e32 v45, v71, v45
	v_fma_f16 v71, v36, s18, v70
	v_fma_f16 v70, v28, s10, -v31
	v_add_f16_e32 v53, v70, v53
	v_mul_f16_e32 v70, 0x3bb2, v27
	v_fma_f16 v31, v28, s10, v31
	v_add_f16_e32 v55, v31, v55
	v_fma_f16 v31, v36, s10, -v70
	s_movk_i32 s20, 0x3964
	v_add_f16_e32 v56, v31, v56
	v_mul_f16_sdwa v31, v27, s20 dst_sel:DWORD dst_unused:UNUSED_PAD src0_sel:WORD_1 src1_sel:DWORD
	v_add_f16_e32 v50, v71, v50
	v_fma_f16 v71, v36, s10, v70
	v_fma_f16 v70, v28, s5, -v31
	v_add_f16_e32 v57, v70, v57
	v_mul_f16_e32 v70, 0x3964, v27
	v_fma_f16 v31, v28, s5, v31
	v_add_f16_e32 v59, v31, v59
	v_fma_f16 v31, v36, s5, -v70
	v_add_f16_e32 v60, v31, v60
	v_mul_f16_sdwa v31, v27, s23 dst_sel:DWORD dst_unused:UNUSED_PAD src0_sel:WORD_1 src1_sel:DWORD
	v_add_f16_e32 v54, v71, v54
	v_fma_f16 v71, v36, s5, v70
	v_fma_f16 v70, v28, s2, -v31
	v_add_f16_e32 v61, v70, v61
	v_mul_f16_e32 v70, 0xb5c8, v27
	v_fma_f16 v31, v28, s2, v31
	v_add_f16_e32 v63, v31, v63
	v_fma_f16 v31, v36, s2, -v70
	;; [unrolled: 10-line block ×3, first 2 shown]
	v_add_f16_e32 v68, v31, v68
	v_pk_add_f16 v31, v44, v37 neg_lo:[0,1] neg_hi:[0,1]
	v_add_f16_e32 v62, v71, v62
	v_fma_f16 v71, v36, s6, v70
	v_pk_add_f16 v36, v37, v44
	v_mul_f16_sdwa v37, v31, s24 dst_sel:DWORD dst_unused:UNUSED_PAD src0_sel:WORD_1 src1_sel:DWORD
	v_fma_f16 v44, v36, s6, -v37
	v_fma_f16 v37, v36, s6, v37
	s_mov_b32 s25, 0x2de8bbdd
	v_add_f16_e32 v70, v37, v38
	v_pk_mul_f16 v37, v36, s25
	s_mov_b32 s25, 0xb1e1bbf7
	v_add_f16_e32 v39, v44, v39
	v_pk_fma_f16 v44, v31, s25, v37 op_sel:[0,0,1] op_sel_hi:[1,1,0] neg_lo:[1,0,0] neg_hi:[1,0,0]
	v_pk_fma_f16 v37, v31, s25, v37 op_sel:[0,0,1] op_sel_hi:[1,1,0]
	v_bfi_b32 v38, s4, v37, v44
	v_add_f16_e32 v66, v71, v66
	v_pk_add_f16 v69, v38, v69
	v_lshrrev_b32_e32 v38, 16, v36
	v_mul_f16_e32 v71, 0xb1e1, v31
	v_pk_add_f16 v48, v37, v48
	v_fma_f16 v37, v38, s18, -v71
	v_add_f16_e32 v40, v37, v40
	v_mul_f16_sdwa v37, v31, s21 dst_sel:DWORD dst_unused:UNUSED_PAD src0_sel:WORD_1 src1_sel:DWORD
	v_fma_f16 v72, v38, s18, v71
	v_fma_f16 v71, v36, s10, -v37
	v_add_f16_e32 v49, v71, v49
	v_mul_f16_e32 v71, 0x3bb2, v31
	v_fma_f16 v37, v36, s10, v37
	v_add_f16_e32 v51, v37, v51
	v_fma_f16 v37, v38, s10, -v71
	s_movk_i32 s21, 0x35c8
	v_add_f16_e32 v52, v37, v52
	v_mul_f16_sdwa v37, v31, s21 dst_sel:DWORD dst_unused:UNUSED_PAD src0_sel:WORD_1 src1_sel:DWORD
	v_add_f16_e32 v45, v72, v45
	v_fma_f16 v72, v38, s10, v71
	v_fma_f16 v71, v36, s2, -v37
	v_add_f16_e32 v53, v71, v53
	v_mul_f16_e32 v71, 0x35c8, v31
	v_fma_f16 v37, v36, s2, v37
	v_add_f16_e32 v55, v37, v55
	v_fma_f16 v37, v38, s2, -v71
	v_add_f16_e32 v56, v37, v56
	v_mul_f16_sdwa v37, v31, s22 dst_sel:DWORD dst_unused:UNUSED_PAD src0_sel:WORD_1 src1_sel:DWORD
	v_add_f16_e32 v50, v72, v50
	v_fma_f16 v72, v38, s2, v71
	v_fma_f16 v71, v36, s3, -v37
	v_add_f16_e32 v57, v71, v57
	v_mul_f16_e32 v71, 0xbb29, v31
	v_fma_f16 v37, v36, s3, v37
	v_add_f16_e32 v59, v37, v59
	v_fma_f16 v37, v38, s3, -v71
	;; [unrolled: 10-line block ×3, first 2 shown]
	s_movk_i32 s25, 0x3a62
	v_add_f16_e32 v64, v37, v64
	v_mul_f16_sdwa v37, v31, s25 dst_sel:DWORD dst_unused:UNUSED_PAD src0_sel:WORD_1 src1_sel:DWORD
	v_add_f16_e32 v58, v72, v58
	v_fma_f16 v72, v38, s16, v71
	v_fma_f16 v71, v36, s14, -v37
	v_add_f16_e32 v65, v71, v65
	v_mul_f16_e32 v71, 0x3a62, v31
	v_fma_f16 v37, v36, s14, v37
	v_add_f16_e32 v67, v37, v67
	v_fma_f16 v37, v38, s14, -v71
	v_add_f16_e32 v68, v37, v68
	v_pk_add_f16 v37, v46, v30 neg_lo:[0,1] neg_hi:[0,1]
	v_add_f16_e32 v62, v72, v62
	v_fma_f16 v72, v38, s14, v71
	v_pk_add_f16 v38, v30, v46
	v_mul_f16_sdwa v30, v37, s7 dst_sel:DWORD dst_unused:UNUSED_PAD src0_sel:WORD_1 src1_sel:DWORD
	v_fma_f16 v46, v38, s10, -v30
	s_mov_b32 s27, 0xb461bacd
	v_add_f16_e32 v71, v46, v39
	v_pk_mul_f16 v39, v38, s27
	s_mov_b32 s27, 0x3836bbb2
	v_fma_f16 v30, v38, s10, v30
	v_pk_fma_f16 v46, v37, s27, v39 op_sel:[0,0,1] op_sel_hi:[1,1,0] neg_lo:[1,0,0] neg_hi:[1,0,0]
	v_pk_fma_f16 v39, v37, s27, v39 op_sel:[0,0,1] op_sel_hi:[1,1,0]
	v_add_f16_e32 v30, v30, v70
	v_bfi_b32 v70, s4, v39, v46
	v_add_f16_e32 v66, v72, v66
	v_pk_add_f16 v69, v70, v69
	v_lshrrev_b32_e32 v70, 16, v38
	v_mul_f16_e32 v72, 0x3836, v37
	v_pk_add_f16 v48, v39, v48
	v_fma_f16 v39, v70, s16, -v72
	v_fma_f16 v73, v70, s16, v72
	v_add_f16_e32 v72, v39, v40
	v_mul_f16_sdwa v39, v37, s20 dst_sel:DWORD dst_unused:UNUSED_PAD src0_sel:WORD_1 src1_sel:DWORD
	v_fma_f16 v40, v38, s5, -v39
	v_add_f16_e32 v49, v40, v49
	v_mul_f16_e32 v40, 0x3964, v37
	v_fma_f16 v39, v38, s5, v39
	v_add_f16_e32 v75, v39, v51
	v_fma_f16 v39, v70, s5, -v40
	v_add_f16_e32 v76, v39, v52
	v_mul_f16_sdwa v39, v37, s22 dst_sel:DWORD dst_unused:UNUSED_PAD src0_sel:WORD_1 src1_sel:DWORD
	v_add_f16_e32 v73, v73, v45
	v_fma_f16 v45, v70, s5, v40
	v_fma_f16 v40, v38, s3, -v39
	v_add_f16_e32 v77, v40, v53
	v_mul_f16_e32 v40, 0xbb29, v37
	v_fma_f16 v39, v38, s3, v39
	v_add_f16_e32 v79, v39, v55
	v_fma_f16 v39, v70, s3, -v40
	v_add_f16_e32 v80, v39, v56
	v_mul_f16_sdwa v39, v37, s17 dst_sel:DWORD dst_unused:UNUSED_PAD src0_sel:WORD_1 src1_sel:DWORD
	v_add_f16_e32 v74, v45, v50
	v_fma_f16 v45, v70, s3, v40
	v_fma_f16 v40, v38, s18, -v39
	v_add_f16_e32 v81, v40, v57
	v_mul_f16_e32 v40, 0xb1e1, v37
	v_fma_f16 v39, v38, s18, v39
	v_add_f16_e32 v83, v39, v59
	v_fma_f16 v39, v70, s18, -v40
	s_movk_i32 s22, 0x3bf7
	v_add_f16_e32 v84, v39, v60
	v_mul_f16_sdwa v39, v37, s22 dst_sel:DWORD dst_unused:UNUSED_PAD src0_sel:WORD_1 src1_sel:DWORD
	v_add_f16_e32 v78, v45, v54
	v_fma_f16 v45, v70, s18, v40
	v_fma_f16 v40, v38, s6, -v39
	v_add_f16_e32 v85, v40, v61
	v_mul_f16_e32 v40, 0x3bf7, v37
	v_fma_f16 v39, v38, s6, v39
	v_add_f16_e32 v87, v39, v63
	v_fma_f16 v39, v70, s6, -v40
	v_add_f16_e32 v88, v39, v64
	v_mul_f16_sdwa v39, v37, s23 dst_sel:DWORD dst_unused:UNUSED_PAD src0_sel:WORD_1 src1_sel:DWORD
	v_add_f16_e32 v82, v45, v58
	v_fma_f16 v45, v70, s6, v40
	v_fma_f16 v40, v38, s2, -v39
	v_add_f16_e32 v89, v40, v65
	v_mul_f16_e32 v40, 0xb5c8, v37
	v_fma_f16 v39, v38, s2, v39
	v_add_f16_e32 v91, v39, v67
	v_fma_f16 v39, v70, s2, -v40
	v_add_f16_e32 v92, v39, v68
	v_pk_add_f16 v39, v47, v29 neg_lo:[0,1] neg_hi:[0,1]
	v_add_f16_e32 v86, v45, v62
	v_fma_f16 v45, v70, s2, v40
	v_pk_add_f16 v40, v29, v47
	v_mul_f16_sdwa v29, v39, s11 dst_sel:DWORD dst_unused:UNUSED_PAD src0_sel:WORD_1 src1_sel:DWORD
	v_add_f16_e32 v90, v45, v66
	v_fma_f16 v45, v40, s14, -v29
	v_fma_f16 v29, v40, s14, v29
	s_mov_b32 s27, 0xb8d2b461
	v_add_f16_e32 v50, v29, v30
	v_pk_mul_f16 v29, v40, s27
	s_mov_b32 s27, 0x3bb2ba62
	v_pk_fma_f16 v47, v39, s27, v29 op_sel:[0,0,1] op_sel_hi:[1,1,0] neg_lo:[1,0,0] neg_hi:[1,0,0]
	v_pk_fma_f16 v29, v39, s27, v29 op_sel:[0,0,1] op_sel_hi:[1,1,0]
	v_bfi_b32 v30, s4, v29, v47
	v_pk_add_f16 v51, v30, v69
	v_lshrrev_b32_e32 v93, 16, v40
	v_mul_f16_e32 v30, 0x3bb2, v39
	v_fma_f16 v52, v93, s10, v30
	v_fma_f16 v30, v93, s10, -v30
	v_add_f16_e32 v53, v30, v72
	v_mul_f16_sdwa v30, v39, s23 dst_sel:DWORD dst_unused:UNUSED_PAD src0_sel:WORD_1 src1_sel:DWORD
	v_pk_add_f16 v29, v29, v48
	v_fma_f16 v48, v40, s2, -v30
	v_add_f16_e32 v54, v48, v49
	v_mul_f16_e32 v48, 0xb5c8, v39
	v_fma_f16 v30, v40, s2, v30
	v_fma_f16 v49, v93, s2, v48
	v_add_f16_e32 v56, v30, v75
	v_fma_f16 v30, v93, s2, -v48
	v_mul_f16_sdwa v48, v39, s15 dst_sel:DWORD dst_unused:UNUSED_PAD src0_sel:WORD_1 src1_sel:DWORD
	v_add_f16_e32 v55, v49, v74
	v_fma_f16 v49, v40, s16, -v48
	v_add_f16_e32 v57, v49, v77
	v_mul_f16_e32 v49, 0xb836, v39
	v_fma_f16 v48, v40, s16, v48
	v_add_f16_e32 v59, v48, v79
	v_fma_f16 v48, v93, s16, -v49
	v_add_f16_e32 v60, v48, v80
	v_mul_f16_sdwa v48, v39, s22 dst_sel:DWORD dst_unused:UNUSED_PAD src0_sel:WORD_1 src1_sel:DWORD
	v_fma_f16 v58, v93, s16, v49
	v_fma_f16 v49, v40, s6, -v48
	v_add_f16_e32 v61, v49, v81
	v_mul_f16_e32 v49, 0x3bf7, v39
	v_fma_f16 v48, v40, s6, v48
	v_add_f16_e32 v63, v48, v83
	v_fma_f16 v48, v93, s6, -v49
	v_add_f16_e32 v64, v48, v84
	v_mul_f16_sdwa v48, v39, s26 dst_sel:DWORD dst_unused:UNUSED_PAD src0_sel:WORD_1 src1_sel:DWORD
	v_fma_f16 v62, v93, s6, v49
	;; [unrolled: 9-line block ×3, first 2 shown]
	v_fma_f16 v49, v40, s18, -v48
	v_add_f16_e32 v69, v49, v89
	v_mul_f16_e32 v49, 0xb1e1, v39
	v_fma_f16 v48, v40, s18, v48
	v_add_f16_e32 v45, v45, v71
	v_add_f16_e32 v71, v48, v91
	v_fma_f16 v48, v93, s18, -v49
	v_add_f16_e32 v72, v48, v92
	v_pk_add_f16 v48, v12, v15 neg_lo:[0,1] neg_hi:[0,1]
	v_fma_f16 v70, v93, s18, v49
	v_pk_add_f16 v49, v15, v12
	v_mul_f16_sdwa v12, v48, s15 dst_sel:DWORD dst_unused:UNUSED_PAD src0_sel:WORD_1 src1_sel:DWORD
	v_fma_f16 v15, v49, s16, -v12
	v_fma_f16 v12, v49, s16, v12
	s_mov_b32 s26, 0xbacd3722
	v_add_f16_e32 v52, v52, v73
	v_add_f16_e32 v73, v12, v50
	v_pk_mul_f16 v12, v49, s26
	s_mov_b32 s26, 0x3b29b836
	v_pk_fma_f16 v74, v48, s26, v12 op_sel:[0,0,1] op_sel_hi:[1,1,0] neg_lo:[1,0,0] neg_hi:[1,0,0]
	v_pk_fma_f16 v12, v48, s26, v12 op_sel:[0,0,1] op_sel_hi:[1,1,0]
	v_add_f16_e32 v45, v15, v45
	v_bfi_b32 v15, s4, v12, v74
	v_pk_add_f16 v75, v15, v51
	v_lshrrev_b32_e32 v50, 16, v49
	v_mul_f16_e32 v15, 0x3b29, v48
	v_fma_f16 v51, v50, s3, v15
	v_fma_f16 v15, v50, s3, -v15
	v_add_f16_e32 v53, v15, v53
	v_mul_f16_sdwa v15, v48, s24 dst_sel:DWORD dst_unused:UNUSED_PAD src0_sel:WORD_1 src1_sel:DWORD
	v_add_f16_e32 v52, v51, v52
	v_fma_f16 v51, v49, s6, -v15
	v_add_f16_e32 v54, v51, v54
	v_mul_f16_e32 v51, 0xbbf7, v48
	v_fma_f16 v15, v49, s6, v15
	v_add_f16_e32 v30, v30, v76
	v_fma_f16 v76, v50, s6, v51
	v_add_f16_e32 v56, v15, v56
	v_fma_f16 v15, v50, s6, -v51
	v_mul_f16_sdwa v51, v48, s25 dst_sel:DWORD dst_unused:UNUSED_PAD src0_sel:WORD_1 src1_sel:DWORD
	v_add_f16_e32 v55, v76, v55
	v_fma_f16 v76, v49, s14, -v51
	v_add_f16_e32 v57, v76, v57
	v_mul_f16_e32 v76, 0x3a62, v48
	v_fma_f16 v51, v49, s14, v51
	v_add_f16_e32 v59, v51, v59
	v_fma_f16 v51, v50, s14, -v76
	v_add_f16_e32 v60, v51, v60
	v_mul_f16_sdwa v51, v48, s23 dst_sel:DWORD dst_unused:UNUSED_PAD src0_sel:WORD_1 src1_sel:DWORD
	v_fma_f16 v77, v50, s14, v76
	v_fma_f16 v76, v49, s2, -v51
	v_add_f16_e32 v61, v76, v61
	v_mul_f16_e32 v76, 0xb5c8, v48
	v_fma_f16 v51, v49, s2, v51
	v_add_f16_e32 v63, v51, v63
	v_fma_f16 v51, v50, s2, -v76
	v_add_f16_e32 v58, v58, v78
	v_add_f16_e32 v64, v51, v64
	v_mul_f16_sdwa v51, v48, s17 dst_sel:DWORD dst_unused:UNUSED_PAD src0_sel:WORD_1 src1_sel:DWORD
	v_add_f16_e32 v58, v77, v58
	v_fma_f16 v77, v50, s2, v76
	v_fma_f16 v76, v49, s18, -v51
	v_add_f16_e32 v65, v76, v65
	v_mul_f16_e32 v76, 0xb1e1, v48
	v_fma_f16 v51, v49, s18, v51
	v_add_f16_e32 v67, v51, v67
	v_fma_f16 v51, v50, s18, -v76
	v_add_f16_e32 v62, v62, v82
	v_add_f16_e32 v68, v51, v68
	v_mul_f16_sdwa v51, v48, s20 dst_sel:DWORD dst_unused:UNUSED_PAD src0_sel:WORD_1 src1_sel:DWORD
	v_add_f16_e32 v62, v77, v62
	v_fma_f16 v77, v50, s18, v76
	v_fma_f16 v76, v49, s5, -v51
	v_add_f16_e32 v66, v66, v86
	v_add_f16_e32 v69, v76, v69
	v_mul_f16_e32 v76, 0x3964, v48
	v_add_f16_sdwa v41, v21, v41 dst_sel:DWORD dst_unused:UNUSED_PAD src0_sel:WORD_1 src1_sel:DWORD
	v_add_f16_e32 v66, v77, v66
	v_fma_f16 v77, v50, s5, v76
	v_fma_f16 v50, v50, s5, -v76
	v_add_f16_e32 v41, v42, v41
	v_fma_f16 v51, v49, s5, v51
	v_add_f16_e32 v72, v50, v72
	v_pk_add_f16 v50, v13, v14 neg_lo:[0,1] neg_hi:[0,1]
	v_add_f16_e32 v41, v43, v41
	v_add_f16_e32 v71, v51, v71
	v_pk_add_f16 v51, v14, v13
	v_mul_f16_sdwa v13, v50, s17 dst_sel:DWORD dst_unused:UNUSED_PAD src0_sel:WORD_1 src1_sel:DWORD
	v_add_f16_e32 v41, v44, v41
	v_fma_f16 v14, v51, s18, -v13
	v_fma_f16 v13, v51, s18, v13
	s_mov_b32 s23, 0xbbdd3b76
	v_add_f16_e32 v41, v46, v41
	v_add_f16_e32 v76, v14, v45
	v_add_f16_e32 v45, v13, v73
	v_pk_mul_f16 v13, v51, s23
	s_mov_b32 s23, 0x35c8b1e1
	v_add_f16_e32 v41, v47, v41
	v_pk_fma_f16 v73, v50, s23, v13 op_sel:[0,0,1] op_sel_hi:[1,1,0] neg_lo:[1,0,0] neg_hi:[1,0,0]
	v_add_f16_e32 v41, v74, v41
	v_add_f16_e32 v46, v73, v41
	v_pk_fma_f16 v41, v50, s23, v13 op_sel:[0,0,1] op_sel_hi:[1,1,0]
	v_bfi_b32 v41, s4, v41, v73
	v_pk_add_f16 v73, v41, v75
	v_lshrrev_b32_e32 v74, 16, v51
	v_mul_f16_e32 v41, 0x35c8, v50
	v_fma_f16 v42, v74, s2, v41
	v_mul_f16_sdwa v43, v50, s15 dst_sel:DWORD dst_unused:UNUSED_PAD src0_sel:WORD_1 src1_sel:DWORD
	v_add_f16_e32 v70, v70, v90
	v_add_f16_e32 v75, v42, v52
	v_fma_f16 v42, v51, s16, -v43
	v_add_f16_e32 v70, v77, v70
	v_add_f16_e32 v77, v42, v54
	v_mul_f16_e32 v42, 0xbacd, v74
	v_fma_f16 v47, v50, s15, v42
	v_add_f16_e32 v55, v47, v55
	v_mul_f16_sdwa v47, v50, s20 dst_sel:DWORD dst_unused:UNUSED_PAD src0_sel:WORD_1 src1_sel:DWORD
	v_fma_f16 v43, v51, s16, v43
	v_fma_f16 v52, v51, s5, -v47
	v_fma_f16 v41, v74, s2, -v41
	v_add_f16_e32 v43, v43, v56
	v_add_f16_e32 v56, v52, v57
	v_mul_f16_e32 v52, 0x3964, v50
	v_add_f16_e32 v41, v41, v53
	v_fma_f16 v53, v74, s5, v52
	v_add_f16_e32 v57, v53, v58
	v_mul_f16_sdwa v53, v50, s11 dst_sel:DWORD dst_unused:UNUSED_PAD src0_sel:WORD_1 src1_sel:DWORD
	v_fma_f16 v54, v51, s14, -v53
	v_fma_f16 v47, v51, s5, v47
	v_add_f16_e32 v58, v54, v61
	v_mul_f16_e32 v54, 0xba62, v50
	v_add_f16_e32 v47, v47, v59
	v_fma_f16 v59, v74, s14, v54
	v_fma_f16 v52, v74, s5, -v52
	v_add_f16_e32 v59, v59, v62
	v_fma_f16 v53, v51, s14, v53
	v_mul_f16_e32 v62, 0x3b29, v50
	v_add_f16_e32 v52, v52, v60
	v_add_f16_e32 v53, v53, v63
	v_fma_f16 v54, v74, s14, -v54
	v_mul_f16_sdwa v60, v50, s19 dst_sel:DWORD dst_unused:UNUSED_PAD src0_sel:WORD_1 src1_sel:DWORD
	v_fma_f16 v63, v74, s3, v62
	v_add_f16_e32 v54, v54, v64
	v_fma_f16 v61, v51, s3, -v60
	v_add_f16_e32 v63, v63, v66
	v_fma_f16 v60, v51, s3, v60
	v_mul_f16_sdwa v64, v50, s7 dst_sel:DWORD dst_unused:UNUSED_PAD src0_sel:WORD_1 src1_sel:DWORD
	v_mul_f16_e32 v66, 0xbbb2, v50
	v_add_f16_e32 v61, v61, v65
	v_add_f16_e32 v60, v60, v67
	v_fma_f16 v65, v51, s10, -v64
	v_fma_f16 v67, v74, s10, v66
	v_pack_b32_f16 v56, v56, v57
	v_pack_b32_f16 v55, v77, v55
	v_add_f16_e32 v65, v65, v69
	v_add_f16_e32 v67, v67, v70
	s_barrier
	ds_write2_b32 v19, v55, v56 offset0:3 offset1:4
	v_pack_b32_f16 v55, v61, v63
	v_pack_b32_f16 v56, v58, v59
	ds_write2_b32 v19, v56, v55 offset0:5 offset1:6
	v_pack_b32_f16 v55, v65, v67
	ds_write2_b32 v19, v23, v55 offset1:7
	v_pk_mul_f16 v23, v24, s18 op_sel_hi:[1,0]
	v_pk_fma_f16 v24, v22, s17, v23 op_sel:[0,0,1] op_sel_hi:[1,0,0] neg_lo:[1,0,0] neg_hi:[1,0,0]
	v_pk_fma_f16 v22, v22, s17, v23 op_sel:[0,0,1] op_sel_hi:[1,0,0]
	v_pk_add_f16 v24, v21, v24 op_sel:[1,0] op_sel_hi:[0,1]
	v_pk_add_f16 v21, v21, v22 op_sel:[1,0] op_sel_hi:[0,1]
	v_pk_mul_f16 v22, v26, s2 op_sel_hi:[1,0]
	v_pk_fma_f16 v23, v25, s21, v22 op_sel:[0,0,1] op_sel_hi:[1,0,0] neg_lo:[1,0,0] neg_hi:[1,0,0]
	v_pk_fma_f16 v22, v25, s21, v22 op_sel:[0,0,1] op_sel_hi:[1,0,0]
	v_pk_add_f16 v21, v22, v21
	v_pk_mul_f16 v22, v28, s16 op_sel_hi:[1,0]
	v_pk_add_f16 v23, v23, v24
	v_pk_fma_f16 v24, v27, s15, v22 op_sel:[0,0,1] op_sel_hi:[1,0,0] neg_lo:[1,0,0] neg_hi:[1,0,0]
	v_pk_fma_f16 v22, v27, s15, v22 op_sel:[0,0,1] op_sel_hi:[1,0,0]
	v_pk_add_f16 v21, v22, v21
	v_pk_mul_f16 v22, v36, s5 op_sel_hi:[1,0]
	v_pk_add_f16 v23, v24, v23
	;; [unrolled: 5-line block ×4, first 2 shown]
	v_pk_fma_f16 v24, v39, s19, v22 op_sel:[0,0,1] op_sel_hi:[1,0,0] neg_lo:[1,0,0] neg_hi:[1,0,0]
	v_pk_fma_f16 v22, v39, s19, v22 op_sel:[0,0,1] op_sel_hi:[1,0,0]
	v_pk_mul_f16 v14, v50, s23
	v_pk_add_f16 v21, v22, v21
	v_pk_mul_f16 v22, v49, s10 op_sel_hi:[1,0]
	v_mul_f16_e32 v44, 0xb836, v50
	v_pk_add_f16 v23, v24, v23
	v_pk_fma_f16 v24, v48, s7, v22 op_sel:[0,0,1] op_sel_hi:[1,0,0] neg_lo:[1,0,0] neg_hi:[1,0,0]
	v_pk_fma_f16 v22, v48, s7, v22 op_sel:[0,0,1] op_sel_hi:[1,0,0]
	v_pack_b32_f16 v13, v15, v13
	v_bfi_b32 v14, s4, v30, v14
	v_pk_add_f16 v21, v22, v21
	v_pk_mul_f16 v22, v51, s6 op_sel_hi:[1,0]
	v_pk_add_f16 v13, v13, v14
	v_bfi_b32 v14, s4, v44, v29
	v_pk_add_f16 v23, v24, v23
	v_pk_fma_f16 v24, v50, s22, v22 op_sel:[0,0,1] op_sel_hi:[1,0,0] neg_lo:[1,0,0] neg_hi:[1,0,0]
	v_pk_fma_f16 v22, v50, s22, v22 op_sel:[0,0,1] op_sel_hi:[1,0,0]
	v_pk_add_f16 v14, v42, v14 neg_lo:[0,1] neg_hi:[0,1]
	v_pk_add_f16 v12, v12, v29
	v_fma_f16 v62, v74, s3, -v62
	v_fma_f16 v64, v51, s10, v64
	v_fma_f16 v66, v74, s10, -v66
	v_pk_add_f16 v23, v24, v23
	v_pk_add_f16 v21, v22, v21
	v_bfi_b32 v12, s4, v14, v12
	v_add_f16_e32 v62, v62, v68
	v_add_f16_e32 v64, v64, v71
	;; [unrolled: 1-line block ×3, first 2 shown]
	v_alignbit_b32 v22, v23, v21, 16
	v_alignbit_b32 v21, v21, v23, 16
	v_pk_add_f16 v12, v12, v13
	ds_write2_b32 v19, v21, v22 offset0:8 offset1:9
	v_pack_b32_f16 v21, v60, v62
	v_pack_b32_f16 v22, v64, v66
	v_alignbit_b32 v13, v41, v12, 16
	v_pack_b32_f16 v12, v43, v12
	v_alignbit_b32 v68, v75, v73, 16
	v_pack_b32_f16 v69, v76, v73
	ds_write2_b32 v19, v22, v21 offset0:10 offset1:11
	v_pack_b32_f16 v21, v47, v52
	v_pack_b32_f16 v22, v53, v54
	ds_write2_b32 v19, v12, v13 offset0:14 offset1:15
	v_pack_b32_f16 v12, v45, v46
	ds_write2_b32 v19, v69, v68 offset0:1 offset1:2
	ds_write2_b32 v19, v22, v21 offset0:12 offset1:13
	ds_write_b32 v19, v12 offset:64
	s_waitcnt lgkmcnt(0)
	s_barrier
	ds_read2_b32 v[14:15], v17 offset0:66 offset1:134
	v_lshl_add_u32 v42, v11, 2, v33
	v_lshl_add_u32 v41, v10, 2, v33
	ds_read2_b32 v[16:17], v16 offset0:74 offset1:142
	v_lshl_add_u32 v40, v9, 2, v33
	v_lshl_add_u32 v39, v8, 2, v33
	;; [unrolled: 3-line block ×3, first 2 shown]
	ds_read2_b32 v[12:13], v1 offset0:90 offset1:158
	v_lshl_add_u32 v36, v5, 2, v33
	ds_read_b32 v22, v32
	ds_read_b32 v23, v42
	;; [unrolled: 1-line block ×8, first 2 shown]
	v_cmp_gt_u32_e32 vcc, 34, v0
	v_lshlrev_b32_e32 v21, 2, v4
                                        ; implicit-def: $vgpr43
                                        ; implicit-def: $vgpr31
	s_and_saveexec_b64 s[2:3], vcc
	s_cbranch_execz .LBB0_14
; %bb.13:
	v_add3_u32 v29, 0, v21, v20
	ds_read_b32 v45, v29
	ds_read_b32 v31, v35 offset:4488
	s_waitcnt lgkmcnt(1)
	v_lshrrev_b32_e32 v46, 16, v45
	s_waitcnt lgkmcnt(0)
	v_lshrrev_b32_e32 v43, 16, v31
.LBB0_14:
	s_or_b64 exec, exec, s[2:3]
	s_mov_b32 s2, 0xf0f1
	v_mul_u32_u24_sdwa v29, v8, s2 dst_sel:DWORD dst_unused:UNUSED_PAD src0_sel:WORD_0 src1_sel:DWORD
	v_lshrrev_b32_e32 v44, 20, v29
	v_mul_lo_u16_e32 v29, 17, v44
	v_sub_u16_e32 v47, v8, v29
	v_mul_u32_u24_sdwa v29, v7, s2 dst_sel:DWORD dst_unused:UNUSED_PAD src0_sel:WORD_0 src1_sel:DWORD
	v_lshrrev_b32_e32 v48, 20, v29
	v_mul_lo_u16_e32 v29, 17, v48
	v_sub_u16_e32 v49, v7, v29
	v_mul_u32_u24_sdwa v29, v6, s2 dst_sel:DWORD dst_unused:UNUSED_PAD src0_sel:WORD_0 src1_sel:DWORD
	v_lshrrev_b32_e32 v50, 20, v29
	v_mul_lo_u16_e32 v29, 17, v50
	v_sub_u16_e32 v51, v6, v29
	v_mul_u32_u24_sdwa v29, v4, s2 dst_sel:DWORD dst_unused:UNUSED_PAD src0_sel:WORD_0 src1_sel:DWORD
	v_lshrrev_b32_e32 v29, 20, v29
	v_mul_lo_u16_e32 v30, 17, v29
	v_sub_u16_e32 v30, v4, v30
	s_movk_i32 s3, 0xf1
	v_mul_u32_u24_sdwa v57, v9, s2 dst_sel:DWORD dst_unused:UNUSED_PAD src0_sel:WORD_0 src1_sel:DWORD
	v_lshlrev_b32_e32 v52, 2, v30
	v_mul_lo_u16_sdwa v56, v10, s3 dst_sel:DWORD dst_unused:UNUSED_PAD src0_sel:BYTE_0 src1_sel:DWORD
	v_lshrrev_b32_e32 v57, 20, v57
	global_load_dword v52, v52, s[8:9]
	v_lshlrev_b32_e32 v51, 2, v51
	v_mul_lo_u16_e32 v58, 17, v57
	v_lshrrev_b16_e32 v56, 12, v56
	v_mul_lo_u16_sdwa v63, v11, s3 dst_sel:DWORD dst_unused:UNUSED_PAD src0_sel:BYTE_0 src1_sel:DWORD
	v_lshlrev_b32_e32 v47, 2, v47
	v_lshlrev_b32_e32 v49, 2, v49
	global_load_dword v53, v51, s[8:9]
	global_load_dword v54, v49, s[8:9]
	;; [unrolled: 1-line block ×3, first 2 shown]
	v_sub_u16_e32 v58, v9, v58
	v_mul_lo_u16_e32 v60, 17, v56
	v_lshrrev_b16_e32 v63, 12, v63
	v_mul_lo_u16_sdwa v66, v0, s3 dst_sel:DWORD dst_unused:UNUSED_PAD src0_sel:BYTE_0 src1_sel:DWORD
	v_mul_u32_u24_sdwa v68, v5, s2 dst_sel:DWORD dst_unused:UNUSED_PAD src0_sel:WORD_0 src1_sel:DWORD
	v_lshlrev_b32_e32 v58, 2, v58
	v_sub_u16_e32 v60, v10, v60
	v_mov_b32_e32 v61, 2
	v_mul_lo_u16_e32 v64, 17, v63
	v_lshrrev_b16_e32 v66, 12, v66
	v_lshrrev_b32_e32 v68, 20, v68
	global_load_dword v59, v58, s[8:9]
	v_lshlrev_b32_sdwa v60, v61, v60 dst_sel:DWORD dst_unused:UNUSED_PAD src0_sel:DWORD src1_sel:BYTE_0
	global_load_dword v62, v60, s[8:9]
	v_sub_u16_e32 v64, v11, v64
	v_mul_lo_u16_e32 v67, 17, v66
	v_mul_lo_u16_e32 v69, 17, v68
	v_lshlrev_b32_sdwa v64, v61, v64 dst_sel:DWORD dst_unused:UNUSED_PAD src0_sel:DWORD src1_sel:BYTE_0
	v_sub_u16_e32 v67, v0, v67
	v_sub_u16_e32 v69, v5, v69
	global_load_dword v65, v64, s[8:9]
	v_lshlrev_b32_sdwa v61, v61, v67 dst_sel:DWORD dst_unused:UNUSED_PAD src0_sel:DWORD src1_sel:BYTE_0
	v_lshlrev_b32_e32 v69, 2, v69
	global_load_dword v70, v69, s[8:9]
	global_load_dword v67, v61, s[8:9]
	s_movk_i32 s2, 0x88
	v_mad_u32_u24 v44, v44, s2, 0
	v_mad_u32_u24 v56, v56, s2, 0
	;; [unrolled: 1-line block ×4, first 2 shown]
	v_add3_u32 v47, v44, v47, v20
	v_add3_u32 v56, v56, v60, v20
	;; [unrolled: 1-line block ×4, first 2 shown]
	v_mad_u32_u24 v57, v57, s2, 0
	v_add3_u32 v57, v57, v58, v20
	v_mad_u32_u24 v66, v66, s2, 0
	v_mad_u32_u24 v63, v63, s2, 0
	v_add3_u32 v61, v66, v61, v20
	v_add3_u32 v63, v63, v64, v20
	s_waitcnt vmcnt(0) lgkmcnt(0)
	s_barrier
	v_mul_f16_sdwa v44, v43, v52 dst_sel:DWORD dst_unused:UNUSED_PAD src0_sel:DWORD src1_sel:WORD_1
	v_mul_f16_sdwa v50, v31, v52 dst_sel:DWORD dst_unused:UNUSED_PAD src0_sel:DWORD src1_sel:WORD_1
	v_fma_f16 v31, v31, v52, -v44
	v_fma_f16 v44, v43, v52, v50
	v_sub_f16_e32 v43, v45, v31
	v_pk_mul_f16 v51, v53, v12 op_sel:[0,1]
	v_pk_fma_f16 v50, v53, v12, v51 op_sel:[0,0,1] op_sel_hi:[1,1,0] neg_lo:[0,0,1] neg_hi:[0,0,1]
	v_pk_mul_f16 v60, v55, v18 op_sel:[0,1]
	v_pk_fma_f16 v31, v55, v18, v60 op_sel:[0,0,1] op_sel_hi:[1,1,0] neg_lo:[0,0,1] neg_hi:[0,0,1]
	v_pk_fma_f16 v18, v55, v18, v60 op_sel:[0,0,1] op_sel_hi:[1,0,0]
	v_pk_fma_f16 v12, v53, v12, v51 op_sel:[0,0,1] op_sel_hi:[1,0,0]
	v_bfi_b32 v18, s4, v31, v18
	v_bfi_b32 v12, s4, v50, v12
	v_pk_mul_f16 v58, v54, v19 op_sel:[0,1]
	v_pk_fma_f16 v51, v54, v19, v58 op_sel:[0,0,1] op_sel_hi:[1,1,0] neg_lo:[0,0,1] neg_hi:[0,0,1]
	v_pk_fma_f16 v19, v54, v19, v58 op_sel:[0,0,1] op_sel_hi:[1,0,0]
	v_bfi_b32 v19, s4, v51, v19
	v_pk_add_f16 v12, v28, v12 neg_lo:[0,1] neg_hi:[0,1]
	v_pk_add_f16 v19, v27, v19 neg_lo:[0,1] neg_hi:[0,1]
	v_pk_mul_f16 v31, v59, v17 op_sel:[0,1]
	v_pk_fma_f16 v50, v59, v17, v31 op_sel:[0,0,1] op_sel_hi:[1,1,0] neg_lo:[0,0,1] neg_hi:[0,0,1]
	v_pk_fma_f16 v17, v59, v17, v31 op_sel:[0,0,1] op_sel_hi:[1,0,0]
	v_pk_mul_f16 v31, v62, v16 op_sel:[0,1]
	v_bfi_b32 v17, s4, v50, v17
	v_pk_fma_f16 v50, v62, v16, v31 op_sel:[0,0,1] op_sel_hi:[1,1,0] neg_lo:[0,0,1] neg_hi:[0,0,1]
	v_pk_fma_f16 v16, v62, v16, v31 op_sel:[0,0,1] op_sel_hi:[1,0,0]
	v_bfi_b32 v16, s4, v50, v16
	v_pk_add_f16 v18, v26, v18 neg_lo:[0,1] neg_hi:[0,1]
	v_pk_mul_f16 v31, v65, v15 op_sel:[0,1]
	v_pk_fma_f16 v50, v65, v15, v31 op_sel:[0,0,1] op_sel_hi:[1,1,0] neg_lo:[0,0,1] neg_hi:[0,0,1]
	v_pk_fma_f16 v15, v65, v15, v31 op_sel:[0,0,1] op_sel_hi:[1,0,0]
	v_bfi_b32 v15, s4, v50, v15
	v_pk_mul_f16 v31, v67, v14 op_sel:[0,1]
	v_pk_fma_f16 v50, v67, v14, v31 op_sel:[0,0,1] op_sel_hi:[1,1,0] neg_lo:[0,0,1] neg_hi:[0,0,1]
	v_pk_fma_f16 v14, v67, v14, v31 op_sel:[0,0,1] op_sel_hi:[1,0,0]
	v_bfi_b32 v14, s4, v50, v14
	v_pk_add_f16 v14, v22, v14 neg_lo:[0,1] neg_hi:[0,1]
	v_pk_add_f16 v17, v25, v17 neg_lo:[0,1] neg_hi:[0,1]
	v_pk_add_f16 v16, v24, v16 neg_lo:[0,1] neg_hi:[0,1]
	v_pk_add_f16 v15, v23, v15 neg_lo:[0,1] neg_hi:[0,1]
	v_pk_fma_f16 v22, v22, 2.0, v14 op_sel_hi:[1,0,1] neg_lo:[0,0,1] neg_hi:[0,0,1]
	v_pk_fma_f16 v28, v28, 2.0, v12 op_sel_hi:[1,0,1] neg_lo:[0,0,1] neg_hi:[0,0,1]
	;; [unrolled: 1-line block ×7, first 2 shown]
	ds_write2_b32 v61, v22, v14 offset1:17
	ds_write2_b32 v63, v23, v15 offset1:17
	;; [unrolled: 1-line block ×7, first 2 shown]
	v_pk_mul_f16 v14, v13, v70 op_sel:[0,1]
	v_pk_fma_f16 v15, v13, v70, v14 op_sel:[0,0,1] op_sel_hi:[1,1,0] neg_lo:[0,0,1] neg_hi:[0,0,1]
	v_pk_fma_f16 v13, v13, v70, v14 op_sel:[0,0,1] op_sel_hi:[1,0,0]
	v_bfi_b32 v13, s4, v15, v13
	v_mad_u32_u24 v12, v68, s2, 0
	v_pk_add_f16 v13, v1, v13 neg_lo:[0,1] neg_hi:[0,1]
	v_sub_f16_e32 v44, v46, v44
	v_add3_u32 v12, v12, v69, v20
	v_pk_fma_f16 v1, v1, 2.0, v13 op_sel_hi:[1,0,1] neg_lo:[0,0,1] neg_hi:[0,0,1]
	ds_write2_b32 v12, v1, v13 offset1:17
	s_and_saveexec_b64 s[2:3], vcc
	s_cbranch_execz .LBB0_16
; %bb.15:
	v_mul_lo_u16_e32 v13, 34, v29
	v_fma_f16 v1, v45, 2.0, -v43
	v_fma_f16 v12, v46, 2.0, -v44
	v_lshl_add_u32 v14, v30, 2, 0
	v_lshlrev_b32_e32 v13, 2, v13
	s_mov_b32 s4, 0x5040100
	v_add3_u32 v13, v14, v13, v20
	v_pack_b32_f16 v1, v1, v12
	v_perm_b32 v12, v44, v43, s4
	ds_write2_b32 v13, v1, v12 offset1:17
.LBB0_16:
	s_or_b64 exec, exec, s[2:3]
	v_subrev_u32_e32 v13, 34, v0
	v_cndmask_b32_e32 v1, v13, v0, vcc
	v_lshlrev_b32_e32 v14, 4, v1
	v_mov_b32_e32 v15, 0
	v_lshlrev_b64 v[16:17], 2, v[14:15]
	v_mov_b32_e32 v12, s9
	v_add_co_u32_e64 v16, s[2:3], s8, v16
	v_addc_co_u32_e64 v17, s[2:3], v12, v17, s[2:3]
	s_waitcnt lgkmcnt(0)
	s_barrier
	global_load_dwordx4 v[22:25], v[16:17], off offset:68
	global_load_dwordx4 v[26:29], v[16:17], off offset:84
	;; [unrolled: 1-line block ×4, first 2 shown]
	ds_read_b32 v61, v32
	ds_read_b32 v19, v42
	;; [unrolled: 1-line block ×8, first 2 shown]
	v_add3_u32 v12, 0, v21, v20
	v_add_u32_e32 v18, 0x800, v35
	v_add_u32_e32 v17, 0xa00, v35
	;; [unrolled: 1-line block ×4, first 2 shown]
	ds_read_b32 v21, v12
	ds_read2_b32 v[53:54], v18 offset0:100 offset1:168
	ds_read2_b32 v[55:56], v17 offset0:108 offset1:176
	;; [unrolled: 1-line block ×4, first 2 shown]
	s_waitcnt lgkmcnt(11)
	v_lshrrev_b32_e32 v70, 16, v19
	s_waitcnt lgkmcnt(10)
	v_lshrrev_b32_e32 v71, 16, v30
	;; [unrolled: 2-line block ×3, first 2 shown]
	v_lshrrev_b32_e32 v66, 16, v62
	v_lshrrev_b32_e32 v72, 16, v31
	s_waitcnt lgkmcnt(3)
	v_lshrrev_b32_e32 v74, 16, v53
	v_lshrrev_b32_e32 v75, 16, v54
	s_waitcnt lgkmcnt(2)
	v_lshrrev_b32_e32 v76, 16, v55
	v_lshrrev_b32_e32 v67, 16, v63
	;; [unrolled: 1-line block ×5, first 2 shown]
	s_waitcnt lgkmcnt(1)
	v_lshrrev_b32_e32 v78, 16, v57
	v_lshrrev_b32_e32 v79, 16, v58
	s_waitcnt lgkmcnt(0)
	v_lshrrev_b32_e32 v80, 16, v59
	v_lshrrev_b32_e32 v81, 16, v60
	s_movk_i32 s6, 0x3b76
	s_movk_i32 s4, 0x39e9
	;; [unrolled: 1-line block ×4, first 2 shown]
	s_mov_b32 s5, 0xb461
	s_mov_b32 s7, 0xb8d2
	;; [unrolled: 1-line block ×4, first 2 shown]
	v_lshlrev_b32_e32 v1, 2, v1
	s_waitcnt vmcnt(0)
	s_barrier
	v_mul_f16_sdwa v82, v22, v70 dst_sel:DWORD dst_unused:UNUSED_PAD src0_sel:WORD_1 src1_sel:DWORD
	v_mul_f16_sdwa v83, v22, v19 dst_sel:DWORD dst_unused:UNUSED_PAD src0_sel:WORD_1 src1_sel:DWORD
	;; [unrolled: 1-line block ×4, first 2 shown]
	v_mul_f16_sdwa v96, v73, v29 dst_sel:DWORD dst_unused:UNUSED_PAD src0_sel:DWORD src1_sel:WORD_1
	v_mul_f16_sdwa v97, v21, v29 dst_sel:DWORD dst_unused:UNUSED_PAD src0_sel:DWORD src1_sel:WORD_1
	v_fma_f16 v82, v22, v19, -v82
	v_mul_f16_sdwa v19, v54, v46 dst_sel:DWORD dst_unused:UNUSED_PAD src0_sel:DWORD src1_sel:WORD_1
	v_mul_f16_sdwa v86, v24, v72 dst_sel:DWORD dst_unused:UNUSED_PAD src0_sel:WORD_1 src1_sel:DWORD
	v_mul_f16_sdwa v87, v24, v31 dst_sel:DWORD dst_unused:UNUSED_PAD src0_sel:WORD_1 src1_sel:DWORD
	v_mul_f16_sdwa v88, v66, v25 dst_sel:DWORD dst_unused:UNUSED_PAD src0_sel:DWORD src1_sel:WORD_1
	v_mul_f16_sdwa v89, v62, v25 dst_sel:DWORD dst_unused:UNUSED_PAD src0_sel:DWORD src1_sel:WORD_1
	;; [unrolled: 1-line block ×4, first 2 shown]
	v_fma_f16 v70, v22, v70, v83
	v_fma_f16 v83, v23, v30, -v84
	v_fma_f16 v71, v23, v71, v85
	v_fma_f16 v22, v21, v29, -v96
	v_fma_f16 v23, v73, v29, v97
	v_fma_f16 v29, v75, v46, v19
	v_mul_f16_sdwa v19, v76, v47 dst_sel:DWORD dst_unused:UNUSED_PAD src0_sel:DWORD src1_sel:WORD_1
	v_mul_f16_sdwa v90, v67, v26 dst_sel:DWORD dst_unused:UNUSED_PAD src0_sel:DWORD src1_sel:WORD_1
	;; [unrolled: 1-line block ×8, first 2 shown]
	v_fma_f16 v84, v24, v31, -v86
	v_fma_f16 v72, v24, v72, v87
	v_fma_f16 v62, v62, v25, -v88
	v_fma_f16 v66, v66, v25, v89
	;; [unrolled: 2-line block ×3, first 2 shown]
	v_fma_f16 v45, v55, v47, -v19
	v_mul_f16_sdwa v19, v55, v47 dst_sel:DWORD dst_unused:UNUSED_PAD src0_sel:DWORD src1_sel:WORD_1
	v_fma_f16 v63, v63, v26, -v90
	v_fma_f16 v67, v67, v26, v91
	v_fma_f16 v30, v64, v27, -v92
	v_fma_f16 v31, v68, v27, v93
	;; [unrolled: 2-line block ×4, first 2 shown]
	v_mul_f16_sdwa v19, v77, v48 dst_sel:DWORD dst_unused:UNUSED_PAD src0_sel:DWORD src1_sel:WORD_1
	v_fma_f16 v47, v56, v48, -v19
	v_mul_f16_sdwa v19, v56, v48 dst_sel:DWORD dst_unused:UNUSED_PAD src0_sel:DWORD src1_sel:WORD_1
	v_fma_f16 v48, v77, v48, v19
	v_mul_f16_sdwa v19, v78, v49 dst_sel:DWORD dst_unused:UNUSED_PAD src0_sel:DWORD src1_sel:WORD_1
	v_fma_f16 v53, v57, v49, -v19
	v_mul_f16_sdwa v19, v57, v49 dst_sel:DWORD dst_unused:UNUSED_PAD src0_sel:DWORD src1_sel:WORD_1
	v_fma_f16 v49, v78, v49, v19
	;; [unrolled: 4-line block ×5, first 2 shown]
	v_add_f16_e32 v19, v82, v61
	v_add_f16_sdwa v21, v70, v61 dst_sel:DWORD dst_unused:UNUSED_PAD src0_sel:DWORD src1_sel:WORD_1
	v_add_f16_e32 v19, v19, v83
	v_add_f16_e32 v21, v21, v71
	;; [unrolled: 1-line block ×32, first 2 shown]
	v_sub_f16_e32 v56, v82, v56
	v_sub_f16_e32 v52, v70, v52
	v_mul_f16_e32 v59, 0xb5c8, v52
	v_mul_f16_e32 v64, 0xb5c8, v56
	;; [unrolled: 1-line block ×16, first 2 shown]
	v_fma_f16 v60, v57, s6, -v59
	v_fma_f16 v59, v57, s6, v59
	v_fma_f16 v68, v57, s4, -v65
	v_fma_f16 v65, v57, s4, v65
	;; [unrolled: 2-line block ×8, first 2 shown]
	v_fma_f16 v57, v58, s6, v64
	v_fma_f16 v64, v58, s6, -v64
	v_fma_f16 v85, v58, s4, v82
	v_fma_f16 v82, v58, s4, -v82
	;; [unrolled: 2-line block ×8, first 2 shown]
	v_add_f16_e32 v58, v60, v61
	v_add_f16_sdwa v57, v57, v61 dst_sel:DWORD dst_unused:UNUSED_PAD src0_sel:DWORD src1_sel:WORD_1
	v_add_f16_e32 v59, v59, v61
	v_add_f16_sdwa v60, v64, v61 dst_sel:DWORD dst_unused:UNUSED_PAD src0_sel:DWORD src1_sel:WORD_1
	;; [unrolled: 2-line block ×16, first 2 shown]
	v_add_f16_e32 v61, v83, v55
	v_sub_f16_e32 v55, v83, v55
	v_add_f16_e32 v83, v71, v51
	v_sub_f16_e32 v51, v71, v51
	v_mul_f16_e32 v71, 0xb964, v51
	v_fma_f16 v96, v61, s4, -v71
	v_add_f16_e32 v58, v96, v58
	v_mul_f16_e32 v96, 0xb964, v55
	v_fma_f16 v71, v61, s4, v71
	v_add_f16_e32 v59, v71, v59
	v_fma_f16 v71, v83, s4, -v96
	v_add_f16_e32 v60, v71, v60
	v_mul_f16_e32 v71, 0xbbf7, v51
	v_fma_f16 v97, v83, s4, v96
	v_fma_f16 v96, v61, s2, -v71
	v_add_f16_e32 v64, v96, v64
	v_mul_f16_e32 v96, 0xbbf7, v55
	v_fma_f16 v71, v61, s2, v71
	v_add_f16_e32 v65, v71, v65
	v_fma_f16 v71, v83, s2, -v96
	v_add_f16_e32 v71, v71, v82
	v_mul_f16_e32 v82, 0xba62, v51
	v_add_f16_e32 v57, v97, v57
	v_fma_f16 v97, v83, s2, v96
	v_fma_f16 v96, v61, s7, -v82
	v_add_f16_e32 v70, v96, v70
	v_mul_f16_e32 v96, 0xba62, v55
	v_fma_f16 v82, v61, s7, v82
	v_add_f16_e32 v69, v82, v69
	v_fma_f16 v82, v83, s7, -v96
	v_add_f16_e32 v82, v82, v86
	v_mul_f16_e32 v86, 0xb1e1, v51
	v_add_f16_e32 v68, v97, v68
	;; [unrolled: 10-line block ×5, first 2 shown]
	v_fma_f16 v97, v83, s5, v96
	v_fma_f16 v96, v61, s3, -v92
	v_add_f16_e32 v80, v96, v80
	v_mul_f16_e32 v96, 0x3b29, v55
	v_fma_f16 v92, v61, s3, v92
	v_add_f16_e32 v79, v92, v79
	v_fma_f16 v92, v83, s3, -v96
	v_mul_f16_e32 v51, 0x35c8, v51
	v_add_f16_e32 v92, v92, v94
	v_fma_f16 v94, v61, s6, -v51
	v_mul_f16_e32 v55, 0x35c8, v55
	v_fma_f16 v51, v61, s6, v51
	v_add_f16_e32 v51, v51, v52
	v_fma_f16 v52, v83, s6, -v55
	v_add_f16_e32 v52, v52, v56
	v_add_f16_e32 v56, v72, v50
	v_sub_f16_e32 v50, v72, v50
	v_add_f16_e32 v81, v94, v81
	v_fma_f16 v94, v83, s6, v55
	v_add_f16_e32 v55, v84, v54
	v_mul_f16_e32 v61, 0xbb29, v50
	v_sub_f16_e32 v54, v84, v54
	v_fma_f16 v72, v55, s3, -v61
	v_add_f16_e32 v58, v72, v58
	v_mul_f16_e32 v72, 0xbb29, v54
	v_fma_f16 v61, v55, s3, v61
	v_add_f16_e32 v59, v61, v59
	v_fma_f16 v61, v56, s3, -v72
	v_add_f16_e32 v60, v61, v60
	v_mul_f16_e32 v61, 0xba62, v50
	v_add_f16_e32 v91, v97, v91
	v_fma_f16 v97, v83, s3, v96
	v_fma_f16 v83, v56, s3, v72
	v_fma_f16 v72, v55, s7, -v61
	v_add_f16_e32 v64, v72, v64
	v_mul_f16_e32 v72, 0xba62, v54
	v_fma_f16 v61, v55, s7, v61
	v_add_f16_e32 v61, v61, v65
	v_fma_f16 v65, v56, s7, -v72
	v_add_f16_e32 v65, v65, v71
	v_mul_f16_e32 v71, 0x31e1, v50
	v_add_f16_e32 v57, v83, v57
	v_fma_f16 v83, v56, s7, v72
	v_fma_f16 v72, v55, s11, -v71
	v_add_f16_e32 v70, v72, v70
	v_mul_f16_e32 v72, 0x31e1, v54
	v_fma_f16 v71, v55, s11, v71
	v_add_f16_e32 v68, v83, v68
	v_fma_f16 v83, v56, s11, v72
	v_add_f16_e32 v69, v71, v69
	v_fma_f16 v71, v56, s11, -v72
	v_mul_f16_e32 v72, 0x3bb2, v50
	v_add_f16_e32 v71, v71, v82
	v_fma_f16 v82, v55, s5, -v72
	v_add_f16_e32 v74, v82, v74
	v_mul_f16_e32 v82, 0x3bb2, v54
	v_fma_f16 v72, v55, s5, v72
	v_fma_f16 v84, v56, s5, v82
	v_add_f16_e32 v72, v72, v73
	v_fma_f16 v73, v56, s5, -v82
	v_mul_f16_e32 v82, 0x3964, v50
	v_add_f16_e32 v83, v83, v85
	v_fma_f16 v85, v55, s4, -v82
	v_add_f16_e32 v76, v85, v76
	v_mul_f16_e32 v85, 0x3964, v54
	v_fma_f16 v82, v55, s4, v82
	v_add_f16_e32 v73, v73, v86
	v_fma_f16 v86, v56, s4, v85
	v_add_f16_e32 v75, v82, v75
	v_fma_f16 v82, v56, s4, -v85
	v_mul_f16_e32 v85, 0xb5c8, v50
	v_add_f16_e32 v84, v84, v87
	v_fma_f16 v87, v55, s6, -v85
	v_add_f16_e32 v78, v87, v78
	v_mul_f16_e32 v87, 0xb5c8, v54
	v_fma_f16 v85, v55, s6, v85
	v_add_f16_e32 v82, v82, v88
	v_fma_f16 v88, v56, s6, v87
	v_add_f16_e32 v77, v85, v77
	v_fma_f16 v85, v56, s6, -v87
	v_mul_f16_e32 v87, 0xbbf7, v50
	v_add_f16_e32 v86, v86, v89
	v_fma_f16 v89, v55, s2, -v87
	v_add_f16_e32 v80, v89, v80
	v_mul_f16_e32 v89, 0xbbf7, v54
	v_fma_f16 v87, v55, s2, v87
	v_mul_f16_e32 v50, 0xb836, v50
	v_add_f16_e32 v85, v85, v90
	v_fma_f16 v90, v56, s2, v89
	v_add_f16_e32 v79, v87, v79
	v_fma_f16 v87, v56, s2, -v89
	v_fma_f16 v89, v55, s10, -v50
	v_mul_f16_e32 v54, 0xb836, v54
	v_fma_f16 v50, v55, s10, v50
	v_add_f16_e32 v81, v89, v81
	v_fma_f16 v89, v56, s10, v54
	v_add_f16_e32 v50, v50, v51
	v_fma_f16 v51, v56, s10, -v54
	v_add_f16_e32 v54, v66, v49
	v_sub_f16_e32 v49, v66, v49
	v_add_f16_e32 v51, v51, v52
	v_add_f16_e32 v52, v62, v53
	v_mul_f16_e32 v55, 0xbbf7, v49
	v_sub_f16_e32 v53, v62, v53
	v_fma_f16 v56, v52, s2, -v55
	v_add_f16_e32 v56, v56, v58
	v_mul_f16_e32 v58, 0xbbf7, v53
	v_fma_f16 v55, v52, s2, v55
	v_fma_f16 v62, v54, s2, v58
	v_add_f16_e32 v55, v55, v59
	v_fma_f16 v58, v54, s2, -v58
	v_mul_f16_e32 v59, 0xb1e1, v49
	v_add_f16_e32 v57, v62, v57
	v_add_f16_e32 v58, v58, v60
	v_fma_f16 v60, v52, s11, -v59
	v_mul_f16_e32 v62, 0xb1e1, v53
	v_fma_f16 v59, v52, s11, v59
	v_add_f16_e32 v60, v60, v64
	v_fma_f16 v64, v54, s11, v62
	v_add_f16_e32 v59, v59, v61
	v_fma_f16 v61, v54, s11, -v62
	v_mul_f16_e32 v62, 0x3bb2, v49
	v_add_f16_e32 v61, v61, v65
	v_fma_f16 v65, v52, s5, -v62
	v_mul_f16_e32 v66, 0x3bb2, v53
	v_fma_f16 v62, v52, s5, v62
	v_add_f16_e32 v64, v64, v68
	v_fma_f16 v68, v54, s5, v66
	v_add_f16_e32 v62, v62, v69
	v_fma_f16 v66, v54, s5, -v66
	v_mul_f16_e32 v69, 0x35c8, v49
	v_add_f16_e32 v65, v65, v70
	v_add_f16_e32 v66, v66, v71
	v_fma_f16 v70, v52, s6, -v69
	v_mul_f16_e32 v71, 0x35c8, v53
	v_fma_f16 v69, v52, s6, v69
	v_add_f16_e32 v70, v70, v74
	v_fma_f16 v74, v54, s6, v71
	v_add_f16_e32 v69, v69, v72
	v_fma_f16 v71, v54, s6, -v71
	v_mul_f16_e32 v72, 0xbb29, v49
	v_add_f16_e32 v71, v71, v73
	v_fma_f16 v73, v52, s3, -v72
	v_add_f16_e32 v73, v73, v76
	v_mul_f16_e32 v76, 0xbb29, v53
	v_fma_f16 v72, v52, s3, v72
	v_add_f16_e32 v68, v68, v83
	v_fma_f16 v83, v54, s3, v76
	v_add_f16_e32 v72, v72, v75
	v_fma_f16 v75, v54, s3, -v76
	v_mul_f16_e32 v76, 0xb836, v49
	v_add_f16_e32 v75, v75, v82
	v_fma_f16 v82, v52, s10, -v76
	v_add_f16_e32 v78, v82, v78
	;; [unrolled: 10-line block ×3, first 2 shown]
	v_mul_f16_e32 v85, 0x3a62, v53
	v_fma_f16 v82, v52, s7, v82
	v_mul_f16_e32 v49, 0x3964, v49
	v_add_f16_e32 v83, v83, v86
	v_fma_f16 v86, v54, s7, v85
	v_add_f16_e32 v79, v82, v79
	v_fma_f16 v82, v54, s7, -v85
	v_fma_f16 v85, v52, s4, -v49
	v_mul_f16_e32 v53, 0x3964, v53
	v_fma_f16 v49, v52, s4, v49
	v_add_f16_e32 v49, v49, v50
	v_fma_f16 v50, v54, s4, -v53
	v_add_f16_e32 v52, v67, v48
	v_sub_f16_e32 v48, v67, v48
	v_add_f16_e32 v81, v85, v81
	v_fma_f16 v85, v54, s4, v53
	v_add_f16_e32 v50, v50, v51
	v_add_f16_e32 v51, v63, v47
	v_mul_f16_e32 v53, 0xbbb2, v48
	v_sub_f16_e32 v47, v63, v47
	v_fma_f16 v54, v51, s5, -v53
	v_add_f16_e32 v54, v54, v56
	v_mul_f16_e32 v56, 0xbbb2, v47
	v_fma_f16 v53, v51, s5, v53
	v_fma_f16 v63, v52, s5, v56
	v_add_f16_e32 v53, v53, v55
	v_fma_f16 v55, v52, s5, -v56
	v_mul_f16_e32 v56, 0x3836, v48
	v_add_f16_e32 v55, v55, v58
	v_fma_f16 v58, v51, s10, -v56
	v_add_f16_e32 v58, v58, v60
	v_mul_f16_e32 v60, 0x3836, v47
	v_fma_f16 v56, v51, s10, v56
	v_add_f16_e32 v57, v63, v57
	v_fma_f16 v63, v52, s10, v60
	v_add_f16_e32 v56, v56, v59
	v_fma_f16 v59, v52, s10, -v60
	v_mul_f16_e32 v60, 0x3964, v48
	v_add_f16_e32 v63, v63, v64
	v_add_f16_e32 v59, v59, v61
	v_fma_f16 v61, v51, s4, -v60
	v_mul_f16_e32 v64, 0x3964, v47
	v_fma_f16 v60, v51, s4, v60
	v_add_f16_e32 v61, v61, v65
	v_fma_f16 v65, v52, s4, v64
	v_add_f16_e32 v60, v60, v62
	v_fma_f16 v62, v52, s4, -v64
	v_mul_f16_e32 v64, 0xbb29, v48
	v_add_f16_e32 v62, v62, v66
	v_fma_f16 v66, v51, s3, -v64
	v_mul_f16_e32 v67, 0xbb29, v47
	v_fma_f16 v64, v51, s3, v64
	v_add_f16_e32 v65, v65, v68
	v_fma_f16 v68, v52, s3, v67
	v_add_f16_e32 v64, v64, v69
	v_fma_f16 v67, v52, s3, -v67
	v_mul_f16_e32 v69, 0xb1e1, v48
	v_add_f16_e32 v66, v66, v70
	v_add_f16_e32 v67, v67, v71
	v_fma_f16 v70, v51, s11, -v69
	v_mul_f16_e32 v71, 0xb1e1, v47
	v_fma_f16 v69, v51, s11, v69
	v_add_f16_e32 v70, v70, v73
	v_fma_f16 v73, v52, s11, v71
	v_add_f16_e32 v69, v69, v72
	v_fma_f16 v71, v52, s11, -v71
	v_mul_f16_e32 v72, 0x3bf7, v48
	v_add_f16_e32 v68, v68, v74
	;; [unrolled: 10-line block ×3, first 2 shown]
	v_fma_f16 v77, v51, s6, -v76
	v_add_f16_e32 v77, v77, v80
	v_mul_f16_e32 v80, 0xb5c8, v47
	v_fma_f16 v76, v51, s6, v76
	v_mul_f16_e32 v48, 0xba62, v48
	v_add_f16_e32 v73, v73, v83
	v_fma_f16 v83, v52, s6, v80
	v_add_f16_e32 v76, v76, v79
	v_fma_f16 v79, v52, s6, -v80
	v_fma_f16 v80, v51, s7, -v48
	v_mul_f16_e32 v47, 0xba62, v47
	v_add_f16_e32 v80, v80, v81
	v_fma_f16 v81, v52, s7, v47
	v_fma_f16 v47, v52, s7, -v47
	v_fma_f16 v48, v51, s7, v48
	v_add_f16_e32 v47, v47, v50
	v_add_f16_e32 v50, v31, v46
	v_sub_f16_e32 v31, v31, v46
	v_add_f16_e32 v48, v48, v49
	v_add_f16_e32 v49, v30, v45
	v_sub_f16_e32 v30, v30, v45
	v_mul_f16_e32 v45, 0xba62, v31
	v_fma_f16 v46, v49, s7, -v45
	v_mul_f16_e32 v51, 0xba62, v30
	v_fma_f16 v45, v49, s7, v45
	v_fma_f16 v52, v50, s7, v51
	v_add_f16_e32 v45, v45, v53
	v_fma_f16 v51, v50, s7, -v51
	v_mul_f16_e32 v53, 0x3bb2, v31
	v_add_f16_e32 v46, v46, v54
	v_add_f16_e32 v51, v51, v55
	v_fma_f16 v54, v49, s5, -v53
	v_mul_f16_e32 v55, 0x3bb2, v30
	v_fma_f16 v53, v49, s5, v53
	v_add_f16_e32 v52, v52, v57
	v_fma_f16 v57, v50, s5, v55
	v_add_f16_e32 v53, v53, v56
	v_fma_f16 v55, v50, s5, -v55
	v_mul_f16_e32 v56, 0xb5c8, v31
	v_add_f16_e32 v54, v54, v58
	v_add_f16_e32 v55, v55, v59
	v_fma_f16 v58, v49, s6, -v56
	v_mul_f16_e32 v59, 0xb5c8, v30
	v_fma_f16 v56, v49, s6, v56
	v_add_f16_e32 v58, v58, v61
	v_fma_f16 v61, v50, s6, v59
	v_add_f16_e32 v56, v56, v60
	v_fma_f16 v59, v50, s6, -v59
	v_mul_f16_e32 v60, 0xb836, v31
	v_add_f16_e32 v59, v59, v62
	v_fma_f16 v62, v49, s10, -v60
	v_fma_f16 v60, v49, s10, v60
	v_add_f16_e32 v57, v57, v63
	v_mul_f16_e32 v63, 0xb836, v30
	v_add_f16_e32 v60, v60, v64
	v_mul_f16_e32 v64, 0x3bf7, v31
	v_add_f16_e32 v61, v61, v65
	v_add_f16_e32 v62, v62, v66
	v_fma_f16 v65, v50, s10, v63
	v_fma_f16 v63, v50, s10, -v63
	v_fma_f16 v66, v49, s2, -v64
	v_fma_f16 v64, v49, s2, v64
	v_add_f16_e32 v63, v63, v67
	v_mul_f16_e32 v67, 0x3bf7, v30
	v_add_f16_e32 v64, v64, v69
	v_mul_f16_e32 v69, 0xb964, v31
	v_add_f16_e32 v65, v65, v68
	v_add_f16_e32 v66, v66, v70
	v_fma_f16 v68, v50, s2, v67
	v_fma_f16 v67, v50, s2, -v67
	v_fma_f16 v70, v49, s4, -v69
	v_fma_f16 v69, v49, s4, v69
	v_add_f16_e32 v88, v88, v91
	v_add_f16_e32 v67, v67, v71
	v_mul_f16_e32 v71, 0xb964, v30
	v_add_f16_e32 v69, v69, v72
	v_mul_f16_e32 v72, 0xb1e1, v31
	v_add_f16_e32 v84, v84, v88
	v_add_f16_e32 v68, v68, v73
	;; [unrolled: 1-line block ×3, first 2 shown]
	v_fma_f16 v73, v50, s4, v71
	v_fma_f16 v71, v50, s4, -v71
	v_fma_f16 v74, v49, s11, -v72
	v_fma_f16 v72, v49, s11, v72
	v_mul_f16_e32 v31, 0x3b29, v31
	v_add_f16_e32 v78, v78, v84
	v_add_f16_e32 v71, v71, v75
	v_mul_f16_e32 v75, 0xb1e1, v30
	v_add_f16_e32 v72, v72, v76
	v_fma_f16 v76, v49, s3, -v31
	v_mul_f16_e32 v30, 0x3b29, v30
	v_fma_f16 v31, v49, s3, v31
	v_add_f16_e32 v73, v73, v78
	v_fma_f16 v78, v50, s3, v30
	v_add_f16_e32 v31, v31, v48
	v_fma_f16 v30, v50, s3, -v30
	v_add_f16_e32 v48, v27, v29
	v_sub_f16_e32 v27, v27, v29
	v_add_f16_e32 v30, v30, v47
	v_add_f16_e32 v47, v26, v28
	v_sub_f16_e32 v26, v26, v28
	v_mul_f16_e32 v28, 0xb836, v27
	v_fma_f16 v29, v47, s10, -v28
	v_add_f16_e32 v29, v29, v46
	v_mul_f16_e32 v46, 0xb836, v26
	v_fma_f16 v28, v47, s10, v28
	v_add_f16_e32 v28, v28, v45
	v_fma_f16 v45, v48, s10, -v46
	v_fma_f16 v49, v48, s10, v46
	v_add_f16_e32 v46, v45, v51
	v_mul_f16_e32 v45, 0x3b29, v27
	v_add_f16_e32 v74, v74, v77
	v_fma_f16 v77, v50, s11, v75
	v_fma_f16 v75, v50, s11, -v75
	v_fma_f16 v50, v47, s3, -v45
	v_mul_f16_e32 v51, 0x3b29, v26
	v_fma_f16 v45, v47, s3, v45
	v_add_f16_e32 v53, v45, v53
	v_fma_f16 v45, v48, s3, -v51
	v_add_f16_e32 v49, v49, v52
	v_fma_f16 v52, v48, s3, v51
	v_add_f16_e32 v51, v45, v55
	v_mul_f16_e32 v45, 0xbbf7, v27
	v_add_f16_e32 v50, v50, v54
	v_fma_f16 v54, v47, s2, -v45
	v_mul_f16_e32 v55, 0xbbf7, v26
	v_fma_f16 v45, v47, s2, v45
	v_add_f16_e32 v56, v45, v56
	v_fma_f16 v45, v48, s2, -v55
	v_add_f16_e32 v52, v52, v57
	v_fma_f16 v57, v48, s2, v55
	v_add_f16_e32 v55, v45, v59
	v_mul_f16_e32 v45, 0x3a62, v27
	v_add_f16_e32 v54, v54, v58
	;; [unrolled: 10-line block ×4, first 2 shown]
	v_fma_f16 v66, v47, s11, -v45
	v_mul_f16_e32 v67, 0xb1e1, v26
	v_fma_f16 v45, v47, s11, v45
	v_add_f16_e32 v87, v87, v92
	v_add_f16_e32 v69, v45, v69
	v_fma_f16 v45, v48, s11, -v67
	v_add_f16_e32 v82, v82, v87
	v_add_f16_e32 v65, v65, v68
	v_fma_f16 v68, v48, s11, v67
	v_add_f16_e32 v67, v45, v71
	v_mul_f16_e32 v45, 0x3964, v27
	v_add_f16_e32 v79, v79, v82
	v_add_f16_e32 v66, v66, v70
	v_fma_f16 v70, v47, s4, -v45
	v_mul_f16_e32 v71, 0x3964, v26
	v_fma_f16 v45, v47, s4, v45
	v_add_f16_e32 v75, v75, v79
	v_add_f16_e32 v72, v45, v72
	v_fma_f16 v45, v48, s4, -v71
	v_mul_f16_e32 v27, 0xbbb2, v27
	v_add_f16_e32 v94, v94, v95
	v_add_f16_e32 v76, v76, v80
	;; [unrolled: 1-line block ×3, first 2 shown]
	v_fma_f16 v73, v48, s4, v71
	v_add_f16_e32 v71, v45, v75
	v_fma_f16 v45, v47, s5, -v27
	v_mul_f16_e32 v26, 0xbbb2, v26
	v_fma_f16 v27, v47, s5, v27
	v_add_f16_e32 v89, v89, v94
	v_add_f16_e32 v70, v70, v74
	;; [unrolled: 1-line block ×3, first 2 shown]
	v_fma_f16 v45, v48, s5, v26
	v_add_f16_e32 v27, v27, v31
	v_fma_f16 v26, v48, s5, -v26
	v_add_f16_e32 v31, v23, v25
	v_sub_f16_e32 v23, v23, v25
	v_add_f16_e32 v85, v85, v89
	v_add_f16_e32 v26, v26, v30
	;; [unrolled: 1-line block ×3, first 2 shown]
	v_sub_f16_e32 v22, v22, v24
	v_mul_f16_e32 v24, 0xb1e1, v23
	v_add_f16_e32 v81, v81, v85
	v_fma_f16 v25, v30, s11, -v24
	v_add_f16_e32 v78, v78, v81
	v_add_f16_e32 v25, v25, v29
	v_mul_f16_e32 v29, 0xb1e1, v22
	v_add_f16_e32 v75, v45, v78
	v_fma_f16 v45, v31, s11, v29
	v_fma_f16 v24, v30, s11, v24
	v_add_f16_e32 v47, v45, v49
	v_add_f16_e32 v45, v24, v28
	v_fma_f16 v24, v31, s11, -v29
	v_mul_f16_e32 v29, 0x35c8, v22
	v_fma_f16 v48, v31, s6, v29
	v_fma_f16 v29, v31, s6, -v29
	v_add_f16_e32 v46, v24, v46
	v_mul_f16_e32 v24, 0x35c8, v23
	v_add_f16_e32 v29, v29, v51
	v_mul_f16_e32 v51, 0xb836, v22
	v_fma_f16 v28, v30, s6, -v24
	v_add_f16_e32 v48, v48, v52
	v_mul_f16_e32 v49, 0xb836, v23
	v_fma_f16 v52, v31, s10, v51
	v_fma_f16 v51, v31, s10, -v51
	v_add_f16_e32 v28, v28, v50
	v_fma_f16 v24, v30, s6, v24
	v_fma_f16 v50, v30, s10, -v49
	v_fma_f16 v49, v30, s10, v49
	v_add_f16_e32 v51, v51, v55
	v_mul_f16_e32 v55, 0x3964, v22
	v_add_f16_e32 v24, v24, v53
	v_add_f16_e32 v49, v49, v56
	v_mul_f16_e32 v53, 0x3964, v23
	v_fma_f16 v56, v31, s4, v55
	v_fma_f16 v55, v31, s4, -v55
	v_add_f16_e32 v50, v50, v54
	v_fma_f16 v54, v30, s4, -v53
	v_fma_f16 v53, v30, s4, v53
	v_add_f16_e32 v55, v55, v59
	v_mul_f16_e32 v59, 0xba62, v22
	v_add_f16_e32 v52, v52, v57
	v_add_f16_e32 v53, v53, v60
	v_mul_f16_e32 v57, 0xba62, v23
	v_fma_f16 v60, v31, s7, v59
	v_fma_f16 v59, v31, s7, -v59
	v_add_f16_e32 v54, v54, v58
	v_add_f16_e32 v56, v56, v61
	v_fma_f16 v58, v30, s7, -v57
	v_fma_f16 v57, v30, s7, v57
	v_add_f16_e32 v59, v59, v63
	v_mul_f16_e32 v61, 0x3b29, v23
	v_mul_f16_e32 v63, 0x3b29, v22
	v_add_f16_e32 v58, v58, v62
	v_add_f16_e32 v60, v60, v65
	;; [unrolled: 1-line block ×3, first 2 shown]
	v_fma_f16 v62, v30, s3, -v61
	v_fma_f16 v64, v31, s3, v63
	v_fma_f16 v63, v31, s3, -v63
	v_mul_f16_e32 v65, 0xbbb2, v23
	v_add_f16_e32 v62, v62, v66
	v_add_f16_e32 v63, v63, v67
	v_fma_f16 v66, v30, s5, -v65
	v_mul_f16_e32 v67, 0xbbb2, v22
	v_mul_f16_e32 v22, 0x3bf7, v22
	v_add_f16_e32 v93, v97, v93
	v_fma_f16 v61, v30, s3, v61
	v_add_f16_e32 v66, v66, v70
	v_mul_f16_e32 v23, 0x3bf7, v23
	v_fma_f16 v70, v31, s2, v22
	v_fma_f16 v22, v31, s2, -v22
	v_add_f16_e32 v90, v90, v93
	v_add_f16_e32 v61, v61, v69
	v_fma_f16 v69, v30, s2, -v23
	v_fma_f16 v23, v30, s2, v23
	v_add_f16_e32 v22, v22, v26
	v_mov_b32_e32 v26, 0x908
	v_cmp_lt_u32_e64 s[2:3], 33, v0
	v_add_f16_e32 v86, v86, v90
	v_cndmask_b32_e64 v26, 0, v26, s[2:3]
	v_add_f16_e32 v83, v83, v86
	v_add_u32_e32 v26, 0, v26
	v_add_f16_e32 v77, v77, v83
	v_add3_u32 v1, v26, v1, v20
	v_pack_b32_f16 v19, v19, v21
	v_pack_b32_f16 v20, v25, v47
	v_add_f16_e32 v73, v73, v77
	v_add_f16_e32 v64, v64, v68
	v_fma_f16 v68, v31, s5, v67
	ds_write2_b32 v1, v19, v20 offset1:34
	v_pack_b32_f16 v19, v28, v48
	v_pack_b32_f16 v20, v50, v52
	v_add_f16_e32 v68, v68, v73
	ds_write2_b32 v1, v19, v20 offset0:68 offset1:102
	v_pack_b32_f16 v19, v54, v56
	v_pack_b32_f16 v20, v58, v60
	v_fma_f16 v65, v30, s5, v65
	v_fma_f16 v67, v31, s5, -v67
	v_add_f16_e32 v69, v69, v74
	v_add_f16_e32 v70, v70, v75
	v_add_f16_e32 v23, v23, v27
	ds_write2_b32 v1, v19, v20 offset0:136 offset1:170
	v_pack_b32_f16 v19, v62, v64
	v_pack_b32_f16 v20, v66, v68
	v_add_f16_e32 v65, v65, v72
	v_add_f16_e32 v67, v67, v71
	ds_write2_b32 v1, v19, v20 offset0:204 offset1:238
	v_pack_b32_f16 v19, v69, v70
	v_pack_b32_f16 v20, v23, v22
	v_add_u32_e32 v21, 0x400, v1
	ds_write2_b32 v21, v19, v20 offset0:16 offset1:50
	v_pack_b32_f16 v19, v65, v67
	v_pack_b32_f16 v20, v61, v63
	ds_write2_b32 v21, v19, v20 offset0:84 offset1:118
	v_pack_b32_f16 v19, v57, v59
	v_pack_b32_f16 v20, v53, v55
	;; [unrolled: 3-line block ×3, first 2 shown]
	ds_write2_b32 v21, v19, v20 offset0:220 offset1:254
	v_pack_b32_f16 v19, v45, v46
	ds_write_b32 v1, v19 offset:2176
	s_waitcnt lgkmcnt(0)
	s_barrier
	ds_read2_b32 v[26:27], v18 offset0:66 offset1:134
	ds_read2_b32 v[28:29], v17 offset0:74 offset1:142
	;; [unrolled: 1-line block ×4, first 2 shown]
	ds_read_b32 v47, v32
	ds_read_b32 v48, v42
	;; [unrolled: 1-line block ×8, first 2 shown]
	s_and_saveexec_b64 s[2:3], vcc
	s_cbranch_execz .LBB0_18
; %bb.17:
	ds_read_b32 v45, v12
	ds_read_b32 v43, v35 offset:4488
	v_mov_b32_e32 v13, v4
	s_waitcnt lgkmcnt(1)
	v_lshrrev_b32_e32 v46, 16, v45
	s_waitcnt lgkmcnt(0)
	v_lshrrev_b32_e32 v44, 16, v43
.LBB0_18:
	s_or_b64 exec, exec, s[2:3]
	v_mov_b32_e32 v12, v15
	v_lshlrev_b64 v[22:23], 2, v[11:12]
	v_mov_b32_e32 v11, v15
	v_mov_b32_e32 v64, s9
	v_add_co_u32_e64 v54, s[2:3], s8, v22
	v_lshlrev_b64 v[20:21], 2, v[10:11]
	v_addc_co_u32_e64 v55, s[2:3], v64, v23, s[2:3]
	v_mov_b32_e32 v10, v15
	v_add_co_u32_e64 v56, s[2:3], s8, v20
	v_lshlrev_b64 v[18:19], 2, v[9:10]
	v_addc_co_u32_e64 v57, s[2:3], v64, v21, s[2:3]
	v_mov_b32_e32 v9, v15
	v_add_co_u32_e64 v58, s[2:3], s8, v18
	v_lshlrev_b64 v[9:10], 2, v[8:9]
	v_addc_co_u32_e64 v59, s[2:3], v64, v19, s[2:3]
	v_mov_b32_e32 v8, v15
	v_add_co_u32_e64 v60, s[2:3], s8, v9
	v_lshlrev_b64 v[11:12], 2, v[7:8]
	v_addc_co_u32_e64 v61, s[2:3], v64, v10, s[2:3]
	v_mov_b32_e32 v7, v15
	v_add_co_u32_e64 v62, s[2:3], s8, v11
	v_lshlrev_b64 v[16:17], 2, v[6:7]
	v_addc_co_u32_e64 v63, s[2:3], v64, v12, s[2:3]
	v_add_co_u32_e64 v6, s[2:3], s8, v16
	v_addc_co_u32_e64 v7, s[2:3], v64, v17, s[2:3]
	v_mov_b32_e32 v1, v15
	global_load_dword v65, v[6:7], off offset:2244
	global_load_dword v66, v[62:63], off offset:2244
	global_load_dword v67, v[60:61], off offset:2244
	global_load_dword v68, v[58:59], off offset:2244
	global_load_dword v69, v[56:57], off offset:2244
	global_load_dword v70, v[54:55], off offset:2244
	v_lshlrev_b64 v[7:8], 2, v[0:1]
	v_mov_b32_e32 v6, v15
	v_add_co_u32_e64 v54, s[2:3], s8, v7
	v_addc_co_u32_e64 v55, s[2:3], v64, v8, s[2:3]
	global_load_dword v1, v[54:55], off offset:2244
	v_lshlrev_b64 v[5:6], 2, v[5:6]
	v_add_co_u32_e64 v54, s[2:3], s8, v5
	v_addc_co_u32_e64 v55, s[2:3], v64, v6, s[2:3]
	global_load_dword v15, v[54:55], off offset:2244
	s_mov_b32 s2, 0xffff
	s_waitcnt vmcnt(0) lgkmcnt(0)
	s_barrier
	v_pk_mul_f16 v54, v65, v24 op_sel:[0,1]
	v_pk_mul_f16 v55, v66, v31 op_sel:[0,1]
	v_pk_fma_f16 v60, v65, v24, v54 op_sel:[0,0,1] op_sel_hi:[1,1,0] neg_lo:[0,0,1] neg_hi:[0,0,1]
	v_pk_fma_f16 v24, v65, v24, v54 op_sel:[0,0,1] op_sel_hi:[1,0,0]
	v_pk_fma_f16 v54, v66, v31, v55 op_sel:[0,0,1] op_sel_hi:[1,1,0] neg_lo:[0,0,1] neg_hi:[0,0,1]
	v_pk_mul_f16 v59, v70, v27 op_sel:[0,1]
	v_pk_fma_f16 v31, v66, v31, v55 op_sel:[0,0,1] op_sel_hi:[1,0,0]
	v_pk_mul_f16 v56, v67, v30 op_sel:[0,1]
	v_bfi_b32 v31, s2, v54, v31
	v_pk_fma_f16 v54, v70, v27, v59 op_sel:[0,0,1] op_sel_hi:[1,1,0] neg_lo:[0,0,1] neg_hi:[0,0,1]
	v_pk_fma_f16 v27, v70, v27, v59 op_sel:[0,0,1] op_sel_hi:[1,0,0]
	v_pk_fma_f16 v55, v67, v30, v56 op_sel:[0,0,1] op_sel_hi:[1,1,0] neg_lo:[0,0,1] neg_hi:[0,0,1]
	v_pk_fma_f16 v30, v67, v30, v56 op_sel:[0,0,1] op_sel_hi:[1,0,0]
	v_bfi_b32 v27, s2, v54, v27
	v_pk_mul_f16 v54, v1, v26 op_sel:[0,1]
	v_pk_mul_f16 v57, v68, v29 op_sel:[0,1]
	;; [unrolled: 1-line block ×3, first 2 shown]
	v_bfi_b32 v30, s2, v55, v30
	v_pk_fma_f16 v55, v1, v26, v54 op_sel:[0,0,1] op_sel_hi:[1,1,0] neg_lo:[0,0,1] neg_hi:[0,0,1]
	v_pk_fma_f16 v1, v1, v26, v54 op_sel:[0,0,1] op_sel_hi:[1,0,0]
	v_pk_fma_f16 v56, v68, v29, v57 op_sel:[0,0,1] op_sel_hi:[1,1,0] neg_lo:[0,0,1] neg_hi:[0,0,1]
	v_pk_fma_f16 v29, v68, v29, v57 op_sel:[0,0,1] op_sel_hi:[1,0,0]
	;; [unrolled: 2-line block ×3, first 2 shown]
	v_bfi_b32 v1, s2, v55, v1
	v_bfi_b32 v24, s2, v60, v24
	;; [unrolled: 1-line block ×4, first 2 shown]
	v_pk_add_f16 v1, v47, v1 neg_lo:[0,1] neg_hi:[0,1]
	v_pk_add_f16 v24, v53, v24 neg_lo:[0,1] neg_hi:[0,1]
	;; [unrolled: 1-line block ×7, first 2 shown]
	v_pk_fma_f16 v26, v47, 2.0, v1 op_sel_hi:[1,0,1] neg_lo:[0,0,1] neg_hi:[0,0,1]
	v_pk_fma_f16 v53, v53, 2.0, v24 op_sel_hi:[1,0,1] neg_lo:[0,0,1] neg_hi:[0,0,1]
	;; [unrolled: 1-line block ×7, first 2 shown]
	ds_write_b32 v35, v26
	ds_write_b32 v35, v1 offset:2312
	ds_write_b32 v42, v48
	ds_write_b32 v42, v27 offset:2312
	;; [unrolled: 2-line block ×7, first 2 shown]
	v_pk_mul_f16 v1, v25, v15 op_sel:[0,1]
	v_pk_fma_f16 v24, v25, v15, v1 op_sel:[0,0,1] op_sel_hi:[1,1,0] neg_lo:[0,0,1] neg_hi:[0,0,1]
	v_pk_fma_f16 v1, v25, v15, v1 op_sel:[0,0,1] op_sel_hi:[1,0,0]
	v_bfi_b32 v1, s2, v24, v1
	v_pk_add_f16 v1, v14, v1 neg_lo:[0,1] neg_hi:[0,1]
	v_pk_fma_f16 v14, v14, 2.0, v1 op_sel_hi:[1,0,1] neg_lo:[0,0,1] neg_hi:[0,0,1]
	ds_write_b32 v36, v14
	ds_write_b32 v36, v1 offset:2312
	s_and_saveexec_b64 s[4:5], vcc
	s_cbranch_execz .LBB0_20
; %bb.19:
	v_mov_b32_e32 v14, 0
	v_lshlrev_b64 v[13:14], 2, v[13:14]
	v_mov_b32_e32 v1, s9
	v_add_co_u32_e64 v13, s[2:3], s8, v13
	v_addc_co_u32_e64 v14, s[2:3], v1, v14, s[2:3]
	global_load_dword v1, v[13:14], off offset:2244
	s_waitcnt vmcnt(0)
	v_mul_f16_sdwa v13, v44, v1 dst_sel:DWORD dst_unused:UNUSED_PAD src0_sel:DWORD src1_sel:WORD_1
	v_mul_f16_sdwa v14, v43, v1 dst_sel:DWORD dst_unused:UNUSED_PAD src0_sel:DWORD src1_sel:WORD_1
	v_fma_f16 v13, v43, v1, -v13
	v_fma_f16 v1, v44, v1, v14
	v_sub_f16_e32 v13, v45, v13
	v_sub_f16_e32 v1, v46, v1
	v_fma_f16 v14, v45, 2.0, -v13
	v_fma_f16 v15, v46, 2.0, -v1
	v_pack_b32_f16 v1, v13, v1
	v_pack_b32_f16 v13, v14, v15
	ds_write_b32 v35, v13 offset:2176
	ds_write_b32 v35, v1 offset:4488
.LBB0_20:
	s_or_b64 exec, exec, s[4:5]
	s_waitcnt lgkmcnt(0)
	s_barrier
	ds_read_b32 v24, v32
	s_add_u32 s6, s8, 0x11cc
	s_addc_u32 s7, s9, 0
	v_sub_u32_e32 v1, v33, v34
	v_cmp_ne_u32_e64 s[2:3], 0, v0
                                        ; implicit-def: $vgpr14
                                        ; implicit-def: $vgpr13
                                        ; implicit-def: $vgpr15
	s_and_saveexec_b64 s[4:5], s[2:3]
	s_xor_b64 s[4:5], exec, s[4:5]
	s_cbranch_execz .LBB0_22
; %bb.21:
	v_mov_b32_e32 v14, s7
	v_add_co_u32_e64 v13, s[2:3], s6, v7
	v_addc_co_u32_e64 v14, s[2:3], v14, v8, s[2:3]
	global_load_dword v14, v[13:14], off
	ds_read_b32 v13, v1 offset:4624
	s_waitcnt lgkmcnt(0)
	v_add_f16_sdwa v15, v13, v24 dst_sel:DWORD dst_unused:UNUSED_PAD src0_sel:WORD_1 src1_sel:WORD_1
	v_sub_f16_e32 v26, v24, v13
	v_add_f16_e32 v25, v13, v24
	v_sub_f16_sdwa v13, v24, v13 dst_sel:DWORD dst_unused:UNUSED_PAD src0_sel:WORD_1 src1_sel:WORD_1
	v_mul_f16_e32 v24, 0.5, v15
	v_mul_f16_e32 v26, 0.5, v26
	;; [unrolled: 1-line block ×3, first 2 shown]
	s_waitcnt vmcnt(0)
	v_lshrrev_b32_e32 v15, 16, v14
	v_mul_f16_e32 v27, v15, v26
	v_fma_f16 v28, v24, v15, v13
	v_fma_f16 v29, v24, v15, -v13
	v_fma_f16 v13, v25, 0.5, v27
	v_fma_f16 v25, v25, 0.5, -v27
	v_fma_f16 v27, v14, v24, v13
	v_fma_f16 v15, -v14, v26, v28
	v_fma_f16 v13, -v14, v24, v25
	ds_write_b16 v32, v27
	v_fma_f16 v14, -v14, v26, v29
                                        ; implicit-def: $vgpr24
.LBB0_22:
	s_andn2_saveexec_b64 s[2:3], s[4:5]
	s_cbranch_execz .LBB0_24
; %bb.23:
	ds_read_u16 v14, v33 offset:2314
	s_waitcnt lgkmcnt(1)
	v_add_f16_sdwa v25, v24, v24 dst_sel:DWORD dst_unused:UNUSED_PAD src0_sel:WORD_1 src1_sel:DWORD
	v_sub_f16_sdwa v13, v24, v24 dst_sel:DWORD dst_unused:UNUSED_PAD src0_sel:DWORD src1_sel:WORD_1
	v_mov_b32_e32 v15, 0
	ds_write_b16 v32, v25
	s_waitcnt lgkmcnt(1)
	v_xor_b32_e32 v14, 0x8000, v14
	ds_write_b16 v33, v14 offset:2314
	v_mov_b32_e32 v14, 0
.LBB0_24:
	s_or_b64 exec, exec, s[2:3]
	s_waitcnt lgkmcnt(0)
	v_mov_b32_e32 v24, s7
	v_add_co_u32_e64 v22, s[2:3], s6, v22
	v_addc_co_u32_e64 v23, s[2:3], v24, v23, s[2:3]
	global_load_dword v22, v[22:23], off
	v_mov_b32_e32 v23, s7
	v_add_co_u32_e64 v20, s[2:3], s6, v20
	v_addc_co_u32_e64 v21, s[2:3], v23, v21, s[2:3]
	global_load_dword v20, v[20:21], off
	ds_write_b16 v32, v15 offset:2
	v_mov_b32_e32 v15, s7
	v_add_co_u32_e64 v18, s[2:3], s6, v18
	v_addc_co_u32_e64 v19, s[2:3], v15, v19, s[2:3]
	global_load_dword v15, v[18:19], off
	v_mov_b32_e32 v21, s7
	v_add_co_u32_e64 v9, s[2:3], s6, v9
	v_addc_co_u32_e64 v10, s[2:3], v21, v10, s[2:3]
	v_add_co_u32_e64 v11, s[2:3], s6, v11
	s_mov_b32 s5, 0x5040100
	v_addc_co_u32_e64 v12, s[2:3], v23, v12, s[2:3]
	v_perm_b32 v19, v14, v13, s5
	v_add_co_u32_e64 v13, s[2:3], s6, v16
	v_addc_co_u32_e64 v14, s[2:3], v24, v17, s[2:3]
	v_mov_b32_e32 v18, s7
	v_add_co_u32_e64 v5, s[2:3], s6, v5
	ds_write_b32 v1, v19 offset:4624
	v_addc_co_u32_e64 v6, s[2:3], v18, v6, s[2:3]
	ds_read_b32 v16, v42
	ds_read_b32 v17, v1 offset:4352
	global_load_dword v18, v[9:10], off
	global_load_dword v19, v[11:12], off
	;; [unrolled: 1-line block ×4, first 2 shown]
	s_mov_b32 s4, 0xffff
	s_waitcnt lgkmcnt(0)
	v_pk_add_f16 v5, v16, v17 neg_lo:[0,1] neg_hi:[0,1]
	v_pk_add_f16 v6, v16, v17
	v_bfi_b32 v9, s4, v5, v6
	v_bfi_b32 v5, s4, v6, v5
	v_pk_mul_f16 v6, v9, 0.5 op_sel_hi:[1,0]
	v_pk_mul_f16 v5, v5, 0.5 op_sel_hi:[1,0]
	s_waitcnt vmcnt(6)
	v_pk_fma_f16 v9, v22, v6, v5 op_sel:[1,0,0]
	v_pk_mul_f16 v10, v22, v6 op_sel_hi:[0,1]
	v_pk_fma_f16 v11, v22, v6, v5 op_sel:[1,0,0] neg_lo:[1,0,0] neg_hi:[1,0,0]
	v_pk_fma_f16 v5, v22, v6, v5 op_sel:[1,0,0] neg_lo:[0,0,1] neg_hi:[0,0,1]
	v_pk_add_f16 v6, v9, v10 op_sel:[0,1] op_sel_hi:[1,0]
	v_pk_add_f16 v9, v9, v10 op_sel:[0,1] op_sel_hi:[1,0] neg_lo:[0,1] neg_hi:[0,1]
	v_pk_add_f16 v11, v11, v10 op_sel:[0,1] op_sel_hi:[1,0] neg_lo:[0,1] neg_hi:[0,1]
	v_pk_add_f16 v5, v5, v10 op_sel:[0,1] op_sel_hi:[1,0] neg_lo:[0,1] neg_hi:[0,1]
	v_bfi_b32 v6, s4, v6, v9
	v_bfi_b32 v5, s4, v11, v5
	ds_write_b32 v42, v6
	ds_write_b32 v1, v5 offset:4352
	ds_read_b32 v5, v41
	ds_read_b32 v6, v1 offset:4080
	s_waitcnt lgkmcnt(0)
	v_pk_add_f16 v9, v5, v6 neg_lo:[0,1] neg_hi:[0,1]
	v_pk_add_f16 v5, v5, v6
	v_bfi_b32 v6, s4, v9, v5
	v_bfi_b32 v5, s4, v5, v9
	v_pk_mul_f16 v6, v6, 0.5 op_sel_hi:[1,0]
	v_pk_mul_f16 v5, v5, 0.5 op_sel_hi:[1,0]
	s_waitcnt vmcnt(5)
	v_pk_fma_f16 v9, v20, v6, v5 op_sel:[1,0,0]
	v_pk_mul_f16 v10, v20, v6 op_sel_hi:[0,1]
	v_pk_fma_f16 v11, v20, v6, v5 op_sel:[1,0,0] neg_lo:[1,0,0] neg_hi:[1,0,0]
	v_pk_fma_f16 v5, v20, v6, v5 op_sel:[1,0,0] neg_lo:[0,0,1] neg_hi:[0,0,1]
	v_pk_add_f16 v6, v9, v10 op_sel:[0,1] op_sel_hi:[1,0]
	v_pk_add_f16 v9, v9, v10 op_sel:[0,1] op_sel_hi:[1,0] neg_lo:[0,1] neg_hi:[0,1]
	v_pk_add_f16 v11, v11, v10 op_sel:[0,1] op_sel_hi:[1,0] neg_lo:[0,1] neg_hi:[0,1]
	v_pk_add_f16 v5, v5, v10 op_sel:[0,1] op_sel_hi:[1,0] neg_lo:[0,1] neg_hi:[0,1]
	v_bfi_b32 v6, s4, v6, v9
	v_bfi_b32 v5, s4, v11, v5
	ds_write_b32 v41, v6
	ds_write_b32 v1, v5 offset:4080
	ds_read_b32 v5, v40
	ds_read_b32 v6, v1 offset:3808
	;; [unrolled: 22-line block ×3, first 2 shown]
	s_waitcnt lgkmcnt(0)
	v_pk_add_f16 v9, v5, v6 neg_lo:[0,1] neg_hi:[0,1]
	v_pk_add_f16 v5, v5, v6
	v_bfi_b32 v6, s4, v9, v5
	v_bfi_b32 v5, s4, v5, v9
	v_pk_mul_f16 v6, v6, 0.5 op_sel_hi:[1,0]
	v_pk_mul_f16 v5, v5, 0.5 op_sel_hi:[1,0]
	s_waitcnt vmcnt(3)
	v_pk_fma_f16 v9, v18, v6, v5 op_sel:[1,0,0]
	v_pk_mul_f16 v10, v18, v6 op_sel_hi:[0,1]
	v_pk_add_f16 v12, v9, v10 op_sel:[0,1] op_sel_hi:[1,0]
	v_pk_add_f16 v9, v9, v10 op_sel:[0,1] op_sel_hi:[1,0] neg_lo:[0,1] neg_hi:[0,1]
	v_pk_fma_f16 v11, v18, v6, v5 op_sel:[1,0,0] neg_lo:[1,0,0] neg_hi:[1,0,0]
	v_bfi_b32 v9, s4, v12, v9
	v_pk_fma_f16 v5, v18, v6, v5 op_sel:[1,0,0] neg_lo:[0,0,1] neg_hi:[0,0,1]
	ds_write_b32 v39, v9
	v_pk_add_f16 v9, v11, v10 op_sel:[0,1] op_sel_hi:[1,0] neg_lo:[0,1] neg_hi:[0,1]
	v_pk_add_f16 v5, v5, v10 op_sel:[0,1] op_sel_hi:[1,0] neg_lo:[0,1] neg_hi:[0,1]
	v_bfi_b32 v5, s4, v9, v5
	ds_write_b32 v1, v5 offset:3536
	ds_read_b32 v5, v38
	ds_read_b32 v6, v1 offset:3264
	s_waitcnt lgkmcnt(0)
	v_pk_add_f16 v9, v5, v6 neg_lo:[0,1] neg_hi:[0,1]
	v_pk_add_f16 v5, v5, v6
	v_bfi_b32 v6, s4, v9, v5
	v_bfi_b32 v5, s4, v5, v9
	v_pk_mul_f16 v6, v6, 0.5 op_sel_hi:[1,0]
	v_pk_mul_f16 v5, v5, 0.5 op_sel_hi:[1,0]
	s_waitcnt vmcnt(2)
	v_pk_fma_f16 v9, v19, v6, v5 op_sel:[1,0,0]
	v_pk_mul_f16 v10, v19, v6 op_sel_hi:[0,1]
	v_pk_add_f16 v11, v9, v10 op_sel:[0,1] op_sel_hi:[1,0]
	v_pk_add_f16 v9, v9, v10 op_sel:[0,1] op_sel_hi:[1,0] neg_lo:[0,1] neg_hi:[0,1]
	v_bfi_b32 v9, s4, v11, v9
	ds_write_b32 v38, v9
	v_pk_fma_f16 v9, v19, v6, v5 op_sel:[1,0,0] neg_lo:[1,0,0] neg_hi:[1,0,0]
	v_pk_fma_f16 v5, v19, v6, v5 op_sel:[1,0,0] neg_lo:[0,0,1] neg_hi:[0,0,1]
	v_pk_add_f16 v9, v9, v10 op_sel:[0,1] op_sel_hi:[1,0] neg_lo:[0,1] neg_hi:[0,1]
	v_pk_add_f16 v5, v5, v10 op_sel:[0,1] op_sel_hi:[1,0] neg_lo:[0,1] neg_hi:[0,1]
	v_bfi_b32 v5, s4, v9, v5
	ds_write_b32 v1, v5 offset:3264
	ds_read_b32 v5, v37
	ds_read_b32 v6, v1 offset:2992
	s_waitcnt lgkmcnt(0)
	v_pk_add_f16 v9, v5, v6 neg_lo:[0,1] neg_hi:[0,1]
	v_pk_add_f16 v5, v5, v6
	v_bfi_b32 v6, s4, v9, v5
	v_bfi_b32 v5, s4, v5, v9
	v_pk_mul_f16 v6, v6, 0.5 op_sel_hi:[1,0]
	v_pk_mul_f16 v5, v5, 0.5 op_sel_hi:[1,0]
	s_waitcnt vmcnt(1)
	v_pk_fma_f16 v9, v21, v6, v5 op_sel:[1,0,0]
	v_pk_mul_f16 v10, v21, v6 op_sel_hi:[0,1]
	v_pk_add_f16 v11, v9, v10 op_sel:[0,1] op_sel_hi:[1,0]
	v_pk_add_f16 v9, v9, v10 op_sel:[0,1] op_sel_hi:[1,0] neg_lo:[0,1] neg_hi:[0,1]
	v_bfi_b32 v9, s4, v11, v9
	ds_write_b32 v37, v9
	v_pk_fma_f16 v9, v21, v6, v5 op_sel:[1,0,0] neg_lo:[1,0,0] neg_hi:[1,0,0]
	v_pk_fma_f16 v5, v21, v6, v5 op_sel:[1,0,0] neg_lo:[0,0,1] neg_hi:[0,0,1]
	;; [unrolled: 22-line block ×3, first 2 shown]
	v_pk_add_f16 v9, v9, v10 op_sel:[0,1] op_sel_hi:[1,0] neg_lo:[0,1] neg_hi:[0,1]
	v_pk_add_f16 v5, v5, v10 op_sel:[0,1] op_sel_hi:[1,0] neg_lo:[0,1] neg_hi:[0,1]
	v_bfi_b32 v5, s4, v9, v5
	ds_write_b32 v1, v5 offset:2720
	s_and_saveexec_b64 s[2:3], vcc
	s_cbranch_execz .LBB0_26
; %bb.25:
	v_mov_b32_e32 v5, 0
	v_lshlrev_b64 v[5:6], 2, v[4:5]
	v_mov_b32_e32 v9, s7
	v_add_co_u32_e32 v5, vcc, s6, v5
	v_addc_co_u32_e32 v6, vcc, v9, v6, vcc
	global_load_dword v5, v[5:6], off
	v_lshl_add_u32 v4, v4, 2, v33
	ds_read_b32 v6, v4
	ds_read_b32 v9, v1 offset:2448
	s_waitcnt lgkmcnt(0)
	v_pk_add_f16 v10, v6, v9 neg_lo:[0,1] neg_hi:[0,1]
	v_pk_add_f16 v6, v6, v9
	v_bfi_b32 v9, s4, v10, v6
	v_bfi_b32 v6, s4, v6, v10
	v_pk_mul_f16 v9, v9, 0.5 op_sel_hi:[1,0]
	v_pk_mul_f16 v6, v6, 0.5 op_sel_hi:[1,0]
	s_waitcnt vmcnt(0)
	v_pk_fma_f16 v10, v5, v9, v6 op_sel:[1,0,0]
	v_pk_mul_f16 v11, v5, v9 op_sel_hi:[0,1]
	v_pk_fma_f16 v12, v5, v9, v6 op_sel:[1,0,0] neg_lo:[1,0,0] neg_hi:[1,0,0]
	v_pk_fma_f16 v5, v5, v9, v6 op_sel:[1,0,0] neg_lo:[0,0,1] neg_hi:[0,0,1]
	v_pk_add_f16 v6, v10, v11 op_sel:[0,1] op_sel_hi:[1,0]
	v_pk_add_f16 v9, v10, v11 op_sel:[0,1] op_sel_hi:[1,0] neg_lo:[0,1] neg_hi:[0,1]
	v_pk_add_f16 v10, v12, v11 op_sel:[0,1] op_sel_hi:[1,0] neg_lo:[0,1] neg_hi:[0,1]
	;; [unrolled: 1-line block ×3, first 2 shown]
	v_bfi_b32 v6, s4, v6, v9
	v_bfi_b32 v5, s4, v10, v5
	ds_write_b32 v4, v6
	ds_write_b32 v1, v5 offset:2448
.LBB0_26:
	s_or_b64 exec, exec, s[2:3]
	s_waitcnt lgkmcnt(0)
	s_barrier
	s_and_saveexec_b64 s[2:3], s[0:1]
	s_cbranch_execz .LBB0_29
; %bb.27:
	ds_read2_b32 v[4:5], v32 offset1:68
	v_mov_b32_e32 v1, s13
	v_add_co_u32_e32 v2, vcc, s12, v2
	v_addc_co_u32_e32 v1, vcc, v1, v3, vcc
	ds_read2_b32 v[9:10], v32 offset0:136 offset1:204
	v_add_co_u32_e32 v6, vcc, v2, v7
	v_addc_co_u32_e32 v7, vcc, v1, v8, vcc
	s_waitcnt lgkmcnt(1)
	global_store_dword v[6:7], v4, off
	global_store_dword v[6:7], v5, off offset:272
	s_waitcnt lgkmcnt(0)
	global_store_dword v[6:7], v9, off offset:544
	v_add_u32_e32 v5, 0x400, v32
	ds_read2_b32 v[3:4], v5 offset0:16 offset1:84
	ds_read2_b32 v[8:9], v5 offset0:152 offset1:220
	v_add_u32_e32 v5, 0x800, v32
	global_store_dword v[6:7], v10, off offset:816
	ds_read2_b32 v[10:11], v5 offset0:32 offset1:100
	s_waitcnt lgkmcnt(2)
	global_store_dword v[6:7], v3, off offset:1088
	global_store_dword v[6:7], v4, off offset:1360
	s_waitcnt lgkmcnt(1)
	global_store_dword v[6:7], v8, off offset:1632
	global_store_dword v[6:7], v9, off offset:1904
	s_waitcnt lgkmcnt(0)
	global_store_dword v[6:7], v10, off offset:2176
	ds_read2_b32 v[3:4], v5 offset0:168 offset1:236
	v_add_u32_e32 v5, 0xc00, v32
	ds_read2_b32 v[8:9], v5 offset0:48 offset1:116
	global_store_dword v[6:7], v11, off offset:2448
	ds_read2_b32 v[10:11], v5 offset0:184 offset1:252
	s_waitcnt lgkmcnt(2)
	global_store_dword v[6:7], v3, off offset:2720
	global_store_dword v[6:7], v4, off offset:2992
	s_waitcnt lgkmcnt(1)
	global_store_dword v[6:7], v8, off offset:3264
	global_store_dword v[6:7], v9, off offset:3536
	;; [unrolled: 3-line block ×3, first 2 shown]
	ds_read_b32 v5, v32 offset:4352
	v_add_co_u32_e32 v3, vcc, 0x1000, v6
	v_addc_co_u32_e32 v4, vcc, 0, v7, vcc
	s_movk_i32 s0, 0x43
	v_cmp_eq_u32_e32 vcc, s0, v0
	s_waitcnt lgkmcnt(0)
	global_store_dword v[3:4], v5, off offset:256
	s_and_b64 exec, exec, vcc
	s_cbranch_execz .LBB0_29
; %bb.28:
	ds_read_b32 v3, v32 offset:4356
	v_add_co_u32_e32 v0, vcc, 0x1000, v2
	v_addc_co_u32_e32 v1, vcc, 0, v1, vcc
	s_waitcnt lgkmcnt(0)
	global_store_dword v[0:1], v3, off offset:528
.LBB0_29:
	s_endpgm
	.section	.rodata,"a",@progbits
	.p2align	6, 0x0
	.amdhsa_kernel fft_rtc_fwd_len1156_factors_17_2_17_2_wgs_204_tpt_68_halfLds_half_ip_CI_unitstride_sbrr_R2C_dirReg
		.amdhsa_group_segment_fixed_size 0
		.amdhsa_private_segment_fixed_size 0
		.amdhsa_kernarg_size 88
		.amdhsa_user_sgpr_count 6
		.amdhsa_user_sgpr_private_segment_buffer 1
		.amdhsa_user_sgpr_dispatch_ptr 0
		.amdhsa_user_sgpr_queue_ptr 0
		.amdhsa_user_sgpr_kernarg_segment_ptr 1
		.amdhsa_user_sgpr_dispatch_id 0
		.amdhsa_user_sgpr_flat_scratch_init 0
		.amdhsa_user_sgpr_private_segment_size 0
		.amdhsa_uses_dynamic_stack 0
		.amdhsa_system_sgpr_private_segment_wavefront_offset 0
		.amdhsa_system_sgpr_workgroup_id_x 1
		.amdhsa_system_sgpr_workgroup_id_y 0
		.amdhsa_system_sgpr_workgroup_id_z 0
		.amdhsa_system_sgpr_workgroup_info 0
		.amdhsa_system_vgpr_workitem_id 0
		.amdhsa_next_free_vgpr 101
		.amdhsa_next_free_sgpr 28
		.amdhsa_reserve_vcc 1
		.amdhsa_reserve_flat_scratch 0
		.amdhsa_float_round_mode_32 0
		.amdhsa_float_round_mode_16_64 0
		.amdhsa_float_denorm_mode_32 3
		.amdhsa_float_denorm_mode_16_64 3
		.amdhsa_dx10_clamp 1
		.amdhsa_ieee_mode 1
		.amdhsa_fp16_overflow 0
		.amdhsa_exception_fp_ieee_invalid_op 0
		.amdhsa_exception_fp_denorm_src 0
		.amdhsa_exception_fp_ieee_div_zero 0
		.amdhsa_exception_fp_ieee_overflow 0
		.amdhsa_exception_fp_ieee_underflow 0
		.amdhsa_exception_fp_ieee_inexact 0
		.amdhsa_exception_int_div_zero 0
	.end_amdhsa_kernel
	.text
.Lfunc_end0:
	.size	fft_rtc_fwd_len1156_factors_17_2_17_2_wgs_204_tpt_68_halfLds_half_ip_CI_unitstride_sbrr_R2C_dirReg, .Lfunc_end0-fft_rtc_fwd_len1156_factors_17_2_17_2_wgs_204_tpt_68_halfLds_half_ip_CI_unitstride_sbrr_R2C_dirReg
                                        ; -- End function
	.section	.AMDGPU.csdata,"",@progbits
; Kernel info:
; codeLenInByte = 16724
; NumSgprs: 32
; NumVgprs: 101
; ScratchSize: 0
; MemoryBound: 0
; FloatMode: 240
; IeeeMode: 1
; LDSByteSize: 0 bytes/workgroup (compile time only)
; SGPRBlocks: 3
; VGPRBlocks: 25
; NumSGPRsForWavesPerEU: 32
; NumVGPRsForWavesPerEU: 101
; Occupancy: 2
; WaveLimiterHint : 1
; COMPUTE_PGM_RSRC2:SCRATCH_EN: 0
; COMPUTE_PGM_RSRC2:USER_SGPR: 6
; COMPUTE_PGM_RSRC2:TRAP_HANDLER: 0
; COMPUTE_PGM_RSRC2:TGID_X_EN: 1
; COMPUTE_PGM_RSRC2:TGID_Y_EN: 0
; COMPUTE_PGM_RSRC2:TGID_Z_EN: 0
; COMPUTE_PGM_RSRC2:TIDIG_COMP_CNT: 0
	.type	__hip_cuid_d0f79805535b46ed,@object ; @__hip_cuid_d0f79805535b46ed
	.section	.bss,"aw",@nobits
	.globl	__hip_cuid_d0f79805535b46ed
__hip_cuid_d0f79805535b46ed:
	.byte	0                               ; 0x0
	.size	__hip_cuid_d0f79805535b46ed, 1

	.ident	"AMD clang version 19.0.0git (https://github.com/RadeonOpenCompute/llvm-project roc-6.4.0 25133 c7fe45cf4b819c5991fe208aaa96edf142730f1d)"
	.section	".note.GNU-stack","",@progbits
	.addrsig
	.addrsig_sym __hip_cuid_d0f79805535b46ed
	.amdgpu_metadata
---
amdhsa.kernels:
  - .args:
      - .actual_access:  read_only
        .address_space:  global
        .offset:         0
        .size:           8
        .value_kind:     global_buffer
      - .offset:         8
        .size:           8
        .value_kind:     by_value
      - .actual_access:  read_only
        .address_space:  global
        .offset:         16
        .size:           8
        .value_kind:     global_buffer
      - .actual_access:  read_only
        .address_space:  global
        .offset:         24
        .size:           8
        .value_kind:     global_buffer
      - .offset:         32
        .size:           8
        .value_kind:     by_value
      - .actual_access:  read_only
        .address_space:  global
        .offset:         40
        .size:           8
        .value_kind:     global_buffer
      - .actual_access:  read_only
        .address_space:  global
        .offset:         48
        .size:           8
        .value_kind:     global_buffer
      - .offset:         56
        .size:           4
        .value_kind:     by_value
      - .actual_access:  read_only
        .address_space:  global
        .offset:         64
        .size:           8
        .value_kind:     global_buffer
      - .actual_access:  read_only
        .address_space:  global
        .offset:         72
        .size:           8
        .value_kind:     global_buffer
      - .address_space:  global
        .offset:         80
        .size:           8
        .value_kind:     global_buffer
    .group_segment_fixed_size: 0
    .kernarg_segment_align: 8
    .kernarg_segment_size: 88
    .language:       OpenCL C
    .language_version:
      - 2
      - 0
    .max_flat_workgroup_size: 204
    .name:           fft_rtc_fwd_len1156_factors_17_2_17_2_wgs_204_tpt_68_halfLds_half_ip_CI_unitstride_sbrr_R2C_dirReg
    .private_segment_fixed_size: 0
    .sgpr_count:     32
    .sgpr_spill_count: 0
    .symbol:         fft_rtc_fwd_len1156_factors_17_2_17_2_wgs_204_tpt_68_halfLds_half_ip_CI_unitstride_sbrr_R2C_dirReg.kd
    .uniform_work_group_size: 1
    .uses_dynamic_stack: false
    .vgpr_count:     101
    .vgpr_spill_count: 0
    .wavefront_size: 64
amdhsa.target:   amdgcn-amd-amdhsa--gfx906
amdhsa.version:
  - 1
  - 2
...

	.end_amdgpu_metadata
